;; amdgpu-corpus repo=ROCm/rocFFT kind=compiled arch=gfx1030 opt=O3
	.text
	.amdgcn_target "amdgcn-amd-amdhsa--gfx1030"
	.amdhsa_code_object_version 6
	.protected	fft_rtc_back_len2430_factors_10_3_3_3_3_3_wgs_81_tpt_81_halfLds_dp_ip_CI_unitstride_sbrr_C2R_dirReg ; -- Begin function fft_rtc_back_len2430_factors_10_3_3_3_3_3_wgs_81_tpt_81_halfLds_dp_ip_CI_unitstride_sbrr_C2R_dirReg
	.globl	fft_rtc_back_len2430_factors_10_3_3_3_3_3_wgs_81_tpt_81_halfLds_dp_ip_CI_unitstride_sbrr_C2R_dirReg
	.p2align	8
	.type	fft_rtc_back_len2430_factors_10_3_3_3_3_3_wgs_81_tpt_81_halfLds_dp_ip_CI_unitstride_sbrr_C2R_dirReg,@function
fft_rtc_back_len2430_factors_10_3_3_3_3_3_wgs_81_tpt_81_halfLds_dp_ip_CI_unitstride_sbrr_C2R_dirReg: ; @fft_rtc_back_len2430_factors_10_3_3_3_3_3_wgs_81_tpt_81_halfLds_dp_ip_CI_unitstride_sbrr_C2R_dirReg
; %bb.0:
	s_mov_b64 s[26:27], s[2:3]
	s_mov_b64 s[24:25], s[0:1]
	s_clause 0x2
	s_load_dwordx4 s[8:11], s[4:5], 0x0
	s_load_dwordx2 s[2:3], s[4:5], 0x50
	s_load_dwordx2 s[12:13], s[4:5], 0x18
	v_mul_u32_u24_e32 v1, 0x32a, v0
	v_mov_b32_e32 v3, 0
	s_add_u32 s24, s24, s7
	s_addc_u32 s25, s25, 0
	v_add_nc_u32_sdwa v5, s6, v1 dst_sel:DWORD dst_unused:UNUSED_PAD src0_sel:DWORD src1_sel:WORD_1
	v_mov_b32_e32 v1, 0
	v_mov_b32_e32 v6, v3
	;; [unrolled: 1-line block ×3, first 2 shown]
	s_waitcnt lgkmcnt(0)
	v_cmp_lt_u64_e64 s0, s[10:11], 2
	s_and_b32 vcc_lo, exec_lo, s0
	s_cbranch_vccnz .LBB0_8
; %bb.1:
	s_load_dwordx2 s[0:1], s[4:5], 0x10
	v_mov_b32_e32 v1, 0
	s_add_u32 s6, s12, 8
	v_mov_b32_e32 v2, 0
	s_addc_u32 s7, s13, 0
	s_mov_b64 s[16:17], 1
	s_waitcnt lgkmcnt(0)
	s_add_u32 s14, s0, 8
	s_addc_u32 s15, s1, 0
.LBB0_2:                                ; =>This Inner Loop Header: Depth=1
	s_load_dwordx2 s[18:19], s[14:15], 0x0
                                        ; implicit-def: $vgpr7_vgpr8
	s_mov_b32 s0, exec_lo
	s_waitcnt lgkmcnt(0)
	v_or_b32_e32 v4, s19, v6
	v_cmpx_ne_u64_e32 0, v[3:4]
	s_xor_b32 s1, exec_lo, s0
	s_cbranch_execz .LBB0_4
; %bb.3:                                ;   in Loop: Header=BB0_2 Depth=1
	v_cvt_f32_u32_e32 v4, s18
	v_cvt_f32_u32_e32 v7, s19
	s_sub_u32 s0, 0, s18
	s_subb_u32 s20, 0, s19
	v_fmac_f32_e32 v4, 0x4f800000, v7
	v_rcp_f32_e32 v4, v4
	v_mul_f32_e32 v4, 0x5f7ffffc, v4
	v_mul_f32_e32 v7, 0x2f800000, v4
	v_trunc_f32_e32 v7, v7
	v_fmac_f32_e32 v4, 0xcf800000, v7
	v_cvt_u32_f32_e32 v7, v7
	v_cvt_u32_f32_e32 v4, v4
	v_mul_lo_u32 v8, s0, v7
	v_mul_hi_u32 v9, s0, v4
	v_mul_lo_u32 v10, s20, v4
	v_add_nc_u32_e32 v8, v9, v8
	v_mul_lo_u32 v9, s0, v4
	v_add_nc_u32_e32 v8, v8, v10
	v_mul_hi_u32 v10, v4, v9
	v_mul_lo_u32 v11, v4, v8
	v_mul_hi_u32 v12, v4, v8
	v_mul_hi_u32 v13, v7, v9
	v_mul_lo_u32 v9, v7, v9
	v_mul_hi_u32 v14, v7, v8
	v_mul_lo_u32 v8, v7, v8
	v_add_co_u32 v10, vcc_lo, v10, v11
	v_add_co_ci_u32_e32 v11, vcc_lo, 0, v12, vcc_lo
	v_add_co_u32 v9, vcc_lo, v10, v9
	v_add_co_ci_u32_e32 v9, vcc_lo, v11, v13, vcc_lo
	v_add_co_ci_u32_e32 v10, vcc_lo, 0, v14, vcc_lo
	v_add_co_u32 v8, vcc_lo, v9, v8
	v_add_co_ci_u32_e32 v9, vcc_lo, 0, v10, vcc_lo
	v_add_co_u32 v4, vcc_lo, v4, v8
	v_add_co_ci_u32_e32 v7, vcc_lo, v7, v9, vcc_lo
	v_mul_hi_u32 v8, s0, v4
	v_mul_lo_u32 v10, s20, v4
	v_mul_lo_u32 v9, s0, v7
	v_add_nc_u32_e32 v8, v8, v9
	v_mul_lo_u32 v9, s0, v4
	v_add_nc_u32_e32 v8, v8, v10
	v_mul_hi_u32 v10, v4, v9
	v_mul_lo_u32 v11, v4, v8
	v_mul_hi_u32 v12, v4, v8
	v_mul_hi_u32 v13, v7, v9
	v_mul_lo_u32 v9, v7, v9
	v_mul_hi_u32 v14, v7, v8
	v_mul_lo_u32 v8, v7, v8
	v_add_co_u32 v10, vcc_lo, v10, v11
	v_add_co_ci_u32_e32 v11, vcc_lo, 0, v12, vcc_lo
	v_add_co_u32 v9, vcc_lo, v10, v9
	v_add_co_ci_u32_e32 v9, vcc_lo, v11, v13, vcc_lo
	v_add_co_ci_u32_e32 v10, vcc_lo, 0, v14, vcc_lo
	v_add_co_u32 v8, vcc_lo, v9, v8
	v_add_co_ci_u32_e32 v9, vcc_lo, 0, v10, vcc_lo
	v_add_co_u32 v4, vcc_lo, v4, v8
	v_add_co_ci_u32_e32 v11, vcc_lo, v7, v9, vcc_lo
	v_mul_hi_u32 v13, v5, v4
	v_mad_u64_u32 v[9:10], null, v6, v4, 0
	v_mad_u64_u32 v[7:8], null, v5, v11, 0
	;; [unrolled: 1-line block ×3, first 2 shown]
	v_add_co_u32 v4, vcc_lo, v13, v7
	v_add_co_ci_u32_e32 v7, vcc_lo, 0, v8, vcc_lo
	v_add_co_u32 v4, vcc_lo, v4, v9
	v_add_co_ci_u32_e32 v4, vcc_lo, v7, v10, vcc_lo
	v_add_co_ci_u32_e32 v7, vcc_lo, 0, v12, vcc_lo
	v_add_co_u32 v4, vcc_lo, v4, v11
	v_add_co_ci_u32_e32 v9, vcc_lo, 0, v7, vcc_lo
	v_mul_lo_u32 v10, s19, v4
	v_mad_u64_u32 v[7:8], null, s18, v4, 0
	v_mul_lo_u32 v11, s18, v9
	v_sub_co_u32 v7, vcc_lo, v5, v7
	v_add3_u32 v8, v8, v11, v10
	v_sub_nc_u32_e32 v10, v6, v8
	v_subrev_co_ci_u32_e64 v10, s0, s19, v10, vcc_lo
	v_add_co_u32 v11, s0, v4, 2
	v_add_co_ci_u32_e64 v12, s0, 0, v9, s0
	v_sub_co_u32 v13, s0, v7, s18
	v_sub_co_ci_u32_e32 v8, vcc_lo, v6, v8, vcc_lo
	v_subrev_co_ci_u32_e64 v10, s0, 0, v10, s0
	v_cmp_le_u32_e32 vcc_lo, s18, v13
	v_cmp_eq_u32_e64 s0, s19, v8
	v_cndmask_b32_e64 v13, 0, -1, vcc_lo
	v_cmp_le_u32_e32 vcc_lo, s19, v10
	v_cndmask_b32_e64 v14, 0, -1, vcc_lo
	v_cmp_le_u32_e32 vcc_lo, s18, v7
	;; [unrolled: 2-line block ×3, first 2 shown]
	v_cndmask_b32_e64 v15, 0, -1, vcc_lo
	v_cmp_eq_u32_e32 vcc_lo, s19, v10
	v_cndmask_b32_e64 v7, v15, v7, s0
	v_cndmask_b32_e32 v10, v14, v13, vcc_lo
	v_add_co_u32 v13, vcc_lo, v4, 1
	v_add_co_ci_u32_e32 v14, vcc_lo, 0, v9, vcc_lo
	v_cmp_ne_u32_e32 vcc_lo, 0, v10
	v_cndmask_b32_e32 v8, v14, v12, vcc_lo
	v_cndmask_b32_e32 v10, v13, v11, vcc_lo
	v_cmp_ne_u32_e32 vcc_lo, 0, v7
	v_cndmask_b32_e32 v8, v9, v8, vcc_lo
	v_cndmask_b32_e32 v7, v4, v10, vcc_lo
.LBB0_4:                                ;   in Loop: Header=BB0_2 Depth=1
	s_andn2_saveexec_b32 s0, s1
	s_cbranch_execz .LBB0_6
; %bb.5:                                ;   in Loop: Header=BB0_2 Depth=1
	v_cvt_f32_u32_e32 v4, s18
	s_sub_i32 s1, 0, s18
	v_rcp_iflag_f32_e32 v4, v4
	v_mul_f32_e32 v4, 0x4f7ffffe, v4
	v_cvt_u32_f32_e32 v4, v4
	v_mul_lo_u32 v7, s1, v4
	v_mul_hi_u32 v7, v4, v7
	v_add_nc_u32_e32 v4, v4, v7
	v_mul_hi_u32 v4, v5, v4
	v_mul_lo_u32 v7, v4, s18
	v_add_nc_u32_e32 v8, 1, v4
	v_sub_nc_u32_e32 v7, v5, v7
	v_subrev_nc_u32_e32 v9, s18, v7
	v_cmp_le_u32_e32 vcc_lo, s18, v7
	v_cndmask_b32_e32 v7, v7, v9, vcc_lo
	v_cndmask_b32_e32 v4, v4, v8, vcc_lo
	v_cmp_le_u32_e32 vcc_lo, s18, v7
	v_add_nc_u32_e32 v8, 1, v4
	v_cndmask_b32_e32 v7, v4, v8, vcc_lo
	v_mov_b32_e32 v8, v3
.LBB0_6:                                ;   in Loop: Header=BB0_2 Depth=1
	s_or_b32 exec_lo, exec_lo, s0
	s_load_dwordx2 s[0:1], s[6:7], 0x0
	v_mul_lo_u32 v4, v8, s18
	v_mul_lo_u32 v11, v7, s19
	v_mad_u64_u32 v[9:10], null, v7, s18, 0
	s_add_u32 s16, s16, 1
	s_addc_u32 s17, s17, 0
	s_add_u32 s6, s6, 8
	s_addc_u32 s7, s7, 0
	;; [unrolled: 2-line block ×3, first 2 shown]
	v_add3_u32 v4, v10, v11, v4
	v_sub_co_u32 v5, vcc_lo, v5, v9
	v_sub_co_ci_u32_e32 v4, vcc_lo, v6, v4, vcc_lo
	s_waitcnt lgkmcnt(0)
	v_mul_lo_u32 v6, s1, v5
	v_mul_lo_u32 v4, s0, v4
	v_mad_u64_u32 v[1:2], null, s0, v5, v[1:2]
	v_cmp_ge_u64_e64 s0, s[16:17], s[10:11]
	s_and_b32 vcc_lo, exec_lo, s0
	v_add3_u32 v2, v6, v2, v4
	s_cbranch_vccnz .LBB0_9
; %bb.7:                                ;   in Loop: Header=BB0_2 Depth=1
	v_mov_b32_e32 v5, v7
	v_mov_b32_e32 v6, v8
	s_branch .LBB0_2
.LBB0_8:
	v_mov_b32_e32 v8, v6
	v_mov_b32_e32 v7, v5
.LBB0_9:
	s_lshl_b64 s[0:1], s[10:11], 3
	v_mul_hi_u32 v5, 0x3291620, v0
	s_add_u32 s0, s12, s0
	s_addc_u32 s1, s13, s1
	s_load_dwordx2 s[0:1], s[0:1], 0x0
	s_load_dwordx2 s[4:5], s[4:5], 0x20
	s_waitcnt lgkmcnt(0)
	v_mul_lo_u32 v3, s0, v8
	v_mul_lo_u32 v4, s1, v7
	v_mad_u64_u32 v[1:2], null, s0, v7, v[1:2]
	v_cmp_gt_u64_e32 vcc_lo, s[4:5], v[7:8]
	v_add3_u32 v2, v4, v2, v3
	v_mul_u32_u24_e32 v3, 0x51, v5
	v_lshlrev_b64 v[1:2], 4, v[1:2]
	v_sub_nc_u32_e32 v88, v0, v3
	buffer_store_dword v1, off, s[24:27], 0 offset:28 ; 4-byte Folded Spill
	buffer_store_dword v2, off, s[24:27], 0 offset:32 ; 4-byte Folded Spill
	s_and_saveexec_b32 s1, vcc_lo
	s_cbranch_execz .LBB0_13
; %bb.10:
	s_clause 0x1
	buffer_load_dword v0, off, s[24:27], 0 offset:28
	buffer_load_dword v1, off, s[24:27], 0 offset:32
	v_mov_b32_e32 v89, 0
	v_lshlrev_b64 v[2:3], 4, v[88:89]
	s_waitcnt vmcnt(1)
	v_add_co_u32 v0, s0, s2, v0
	s_waitcnt vmcnt(0)
	v_add_co_ci_u32_e64 v1, s0, s3, v1, s0
	v_add_co_u32 v66, s0, v0, v2
	v_add_co_ci_u32_e64 v67, s0, v1, v3, s0
	v_add_co_u32 v14, s0, 0x800, v66
	;; [unrolled: 2-line block ×19, first 2 shown]
	v_add_co_ci_u32_e64 v125, s0, 0, v67, s0
	s_clause 0x1d
	global_load_dwordx4 v[2:5], v[66:67], off
	global_load_dwordx4 v[6:9], v[66:67], off offset:1296
	global_load_dwordx4 v[10:13], v[14:15], off offset:544
	;; [unrolled: 1-line block ×29, first 2 shown]
	v_lshl_add_u32 v86, v88, 4, 0
	v_cmp_eq_u32_e64 s0, 0x50, v88
	s_waitcnt vmcnt(29)
	ds_write_b128 v86, v[2:5]
	s_waitcnt vmcnt(28)
	ds_write_b128 v86, v[6:9] offset:1296
	s_waitcnt vmcnt(27)
	ds_write_b128 v86, v[10:13] offset:2592
	;; [unrolled: 2-line block ×29, first 2 shown]
	s_and_saveexec_b32 s4, s0
	s_cbranch_execz .LBB0_12
; %bb.11:
	v_add_co_u32 v0, s0, 0x9000, v0
	v_add_co_ci_u32_e64 v1, s0, 0, v1, s0
	v_mov_b32_e32 v88, 0x50
	global_load_dwordx4 v[0:3], v[0:1], off offset:2016
	s_waitcnt vmcnt(0)
	ds_write_b128 v89, v[0:3] offset:38880
.LBB0_12:
	s_or_b32 exec_lo, exec_lo, s4
.LBB0_13:
	s_or_b32 exec_lo, exec_lo, s1
	v_lshlrev_b32_e32 v0, 4, v88
	s_waitcnt lgkmcnt(0)
	s_waitcnt_vscnt null, 0x0
	s_barrier
	buffer_gl0_inv
	s_add_u32 s1, s8, 0x9740
	v_add_nc_u32_e32 v21, 0, v0
	v_sub_nc_u32_e32 v16, 0, v0
	s_addc_u32 s4, s9, 0
	s_mov_b32 s5, exec_lo
                                        ; implicit-def: $vgpr4_vgpr5
	ds_read_b64 v[6:7], v21
	ds_read_b64 v[8:9], v16 offset:38880
	s_waitcnt lgkmcnt(0)
	v_add_f64 v[0:1], v[6:7], v[8:9]
	v_add_f64 v[2:3], v[6:7], -v[8:9]
	v_cmpx_ne_u32_e32 0, v88
	s_xor_b32 s5, exec_lo, s5
	s_cbranch_execz .LBB0_15
; %bb.14:
	v_mov_b32_e32 v89, 0
	v_add_f64 v[12:13], v[6:7], v[8:9]
	v_add_f64 v[14:15], v[6:7], -v[8:9]
	v_lshlrev_b64 v[0:1], 4, v[88:89]
	v_add_co_u32 v0, s0, s1, v0
	v_add_co_ci_u32_e64 v1, s0, s4, v1, s0
	global_load_dwordx4 v[2:5], v[0:1], off
	ds_read_b64 v[0:1], v16 offset:38888
	ds_read_b64 v[10:11], v21 offset:8
	s_waitcnt lgkmcnt(0)
	v_add_f64 v[6:7], v[0:1], v[10:11]
	v_add_f64 v[0:1], v[10:11], -v[0:1]
	s_waitcnt vmcnt(0)
	v_fma_f64 v[8:9], v[14:15], v[4:5], v[12:13]
	v_fma_f64 v[10:11], -v[14:15], v[4:5], v[12:13]
	v_fma_f64 v[12:13], v[6:7], v[4:5], -v[0:1]
	v_fma_f64 v[4:5], v[6:7], v[4:5], v[0:1]
	v_fma_f64 v[0:1], -v[6:7], v[2:3], v[8:9]
	v_fma_f64 v[6:7], v[6:7], v[2:3], v[10:11]
	v_fma_f64 v[8:9], v[14:15], v[2:3], v[12:13]
	;; [unrolled: 1-line block ×3, first 2 shown]
	v_mov_b32_e32 v4, v88
	v_mov_b32_e32 v5, v89
	ds_write_b128 v16, v[6:9] offset:38880
.LBB0_15:
	s_andn2_saveexec_b32 s0, s5
	s_cbranch_execz .LBB0_17
; %bb.16:
	v_mov_b32_e32 v12, 0
	ds_read_b128 v[4:7], v12 offset:19440
	s_waitcnt lgkmcnt(0)
	v_add_f64 v[8:9], v[4:5], v[4:5]
	v_mul_f64 v[10:11], v[6:7], -2.0
	v_mov_b32_e32 v4, 0
	v_mov_b32_e32 v5, 0
	ds_write_b128 v12, v[8:11] offset:19440
.LBB0_17:
	s_or_b32 exec_lo, exec_lo, s0
	v_lshlrev_b64 v[4:5], 4, v[4:5]
	v_mov_b32_e32 v82, v21
	v_and_b32_e32 v86, 0xff, v88
	v_add_nc_u32_e32 v87, 0x51, v88
	s_mov_b32 s10, 0x134454ff
	s_mov_b32 s11, 0xbfee6f0e
	v_add_co_u32 v4, s0, s1, v4
	v_add_co_ci_u32_e64 v5, s0, s4, v5, s0
	s_mov_b32 s5, 0x3fee6f0e
	v_add_co_u32 v14, s0, 0x800, v4
	global_load_dwordx4 v[6:9], v[4:5], off offset:1296
	v_add_co_ci_u32_e64 v15, s0, 0, v5, s0
	s_mov_b32 s4, s10
	s_mov_b32 s6, 0x4755a5e
	s_clause 0x1
	global_load_dwordx4 v[10:13], v[14:15], off offset:544
	global_load_dwordx4 v[17:20], v[14:15], off offset:1840
	v_add_co_u32 v14, s0, 0x1000, v4
	v_add_co_ci_u32_e64 v15, s0, 0, v5, s0
	ds_write_b128 v21, v[0:3]
	ds_read_b128 v[0:3], v21 offset:1296
	ds_read_b128 v[21:24], v16 offset:37584
	global_load_dwordx4 v[25:28], v[14:15], off offset:1088
	s_mov_b32 s7, 0xbfe2cf23
	s_mov_b32 s1, 0x3fe2cf23
	;; [unrolled: 1-line block ×4, first 2 shown]
	v_add_nc_u32_e32 v89, 0xa2, v88
	s_mov_b32 s18, 0x9b97f4a8
	s_mov_b32 s17, 0xbfd3c6ef
	;; [unrolled: 1-line block ×6, first 2 shown]
	v_add_nc_u32_e32 v85, 0xf3, v88
	v_add_nc_u32_e32 v96, 0x144, v88
	v_add_nc_u32_e32 v81, 0x195, v88
	v_add_nc_u32_e32 v80, 0x1e6, v88
	v_add_nc_u32_e32 v255, 0x237, v88
	v_add_nc_u32_e32 v84, 0x288, v88
	v_add_nc_u32_e32 v83, 0x2d9, v88
	s_waitcnt lgkmcnt(0)
	v_add_f64 v[14:15], v[0:1], v[21:22]
	v_add_f64 v[29:30], v[23:24], v[2:3]
	v_add_f64 v[31:32], v[0:1], -v[21:22]
	v_add_f64 v[0:1], v[2:3], -v[23:24]
	v_mov_b32_e32 v95, v88
	v_mov_b32_e32 v94, 5
	s_waitcnt vmcnt(3)
	v_fma_f64 v[2:3], v[31:32], v[8:9], v[14:15]
	v_fma_f64 v[21:22], v[29:30], v[8:9], v[0:1]
	v_fma_f64 v[14:15], -v[31:32], v[8:9], v[14:15]
	v_fma_f64 v[8:9], v[29:30], v[8:9], -v[0:1]
	v_fma_f64 v[0:1], -v[29:30], v[6:7], v[2:3]
	v_fma_f64 v[2:3], v[31:32], v[6:7], v[21:22]
	v_fma_f64 v[21:22], v[29:30], v[6:7], v[14:15]
	;; [unrolled: 1-line block ×3, first 2 shown]
	v_add_co_u32 v14, s0, 0x1800, v4
	v_add_co_ci_u32_e64 v15, s0, 0, v5, s0
	ds_write_b128 v82, v[0:3] offset:1296
	ds_write_b128 v16, v[21:24] offset:37584
	ds_read_b128 v[0:3], v82 offset:2592
	ds_read_b128 v[6:9], v16 offset:36288
	global_load_dwordx4 v[21:24], v[14:15], off offset:336
	s_waitcnt lgkmcnt(0)
	v_add_f64 v[29:30], v[0:1], v[6:7]
	v_add_f64 v[31:32], v[8:9], v[2:3]
	v_add_f64 v[33:34], v[0:1], -v[6:7]
	v_add_f64 v[0:1], v[2:3], -v[8:9]
	s_waitcnt vmcnt(3)
	v_fma_f64 v[2:3], v[33:34], v[12:13], v[29:30]
	v_fma_f64 v[6:7], v[31:32], v[12:13], v[0:1]
	v_fma_f64 v[8:9], -v[33:34], v[12:13], v[29:30]
	v_fma_f64 v[12:13], v[31:32], v[12:13], -v[0:1]
	v_fma_f64 v[0:1], -v[31:32], v[10:11], v[2:3]
	v_fma_f64 v[2:3], v[33:34], v[10:11], v[6:7]
	v_fma_f64 v[6:7], v[31:32], v[10:11], v[8:9]
	;; [unrolled: 1-line block ×3, first 2 shown]
	ds_write_b128 v82, v[0:3] offset:2592
	ds_write_b128 v16, v[6:9] offset:36288
	ds_read_b128 v[0:3], v82 offset:3888
	ds_read_b128 v[6:9], v16 offset:34992
	global_load_dwordx4 v[10:13], v[14:15], off offset:1632
	s_waitcnt lgkmcnt(0)
	v_add_f64 v[14:15], v[0:1], v[6:7]
	v_add_f64 v[29:30], v[8:9], v[2:3]
	v_add_f64 v[31:32], v[0:1], -v[6:7]
	v_add_f64 v[0:1], v[2:3], -v[8:9]
	s_waitcnt vmcnt(3)
	v_fma_f64 v[2:3], v[31:32], v[19:20], v[14:15]
	v_fma_f64 v[6:7], v[29:30], v[19:20], v[0:1]
	v_fma_f64 v[8:9], -v[31:32], v[19:20], v[14:15]
	v_fma_f64 v[14:15], v[29:30], v[19:20], -v[0:1]
	v_fma_f64 v[0:1], -v[29:30], v[17:18], v[2:3]
	v_fma_f64 v[2:3], v[31:32], v[17:18], v[6:7]
	v_fma_f64 v[6:7], v[29:30], v[17:18], v[8:9]
	;; [unrolled: 1-line block ×3, first 2 shown]
	v_add_co_u32 v14, s0, 0x2000, v4
	v_add_co_ci_u32_e64 v15, s0, 0, v5, s0
	ds_write_b128 v82, v[0:3] offset:3888
	ds_write_b128 v16, v[6:9] offset:34992
	ds_read_b128 v[0:3], v82 offset:5184
	ds_read_b128 v[6:9], v16 offset:33696
	global_load_dwordx4 v[17:20], v[14:15], off offset:880
	s_waitcnt lgkmcnt(0)
	v_add_f64 v[14:15], v[0:1], v[6:7]
	v_add_f64 v[29:30], v[8:9], v[2:3]
	v_add_f64 v[31:32], v[0:1], -v[6:7]
	v_add_f64 v[0:1], v[2:3], -v[8:9]
	s_waitcnt vmcnt(3)
	v_fma_f64 v[2:3], v[31:32], v[27:28], v[14:15]
	v_fma_f64 v[6:7], v[29:30], v[27:28], v[0:1]
	v_fma_f64 v[8:9], -v[31:32], v[27:28], v[14:15]
	v_fma_f64 v[14:15], v[29:30], v[27:28], -v[0:1]
	v_fma_f64 v[0:1], -v[29:30], v[25:26], v[2:3]
	v_fma_f64 v[2:3], v[31:32], v[25:26], v[6:7]
	v_fma_f64 v[6:7], v[29:30], v[25:26], v[8:9]
	;; [unrolled: 1-line block ×3, first 2 shown]
	v_add_co_u32 v14, s0, 0x2800, v4
	v_add_co_ci_u32_e64 v15, s0, 0, v5, s0
	ds_write_b128 v82, v[0:3] offset:5184
	ds_write_b128 v16, v[6:9] offset:33696
	ds_read_b128 v[0:3], v82 offset:6480
	ds_read_b128 v[6:9], v16 offset:32400
	global_load_dwordx4 v[25:28], v[14:15], off offset:128
	s_waitcnt lgkmcnt(0)
	v_add_f64 v[29:30], v[0:1], v[6:7]
	v_add_f64 v[31:32], v[8:9], v[2:3]
	v_add_f64 v[33:34], v[0:1], -v[6:7]
	v_add_f64 v[0:1], v[2:3], -v[8:9]
	s_waitcnt vmcnt(3)
	v_fma_f64 v[2:3], v[33:34], v[23:24], v[29:30]
	v_fma_f64 v[6:7], v[31:32], v[23:24], v[0:1]
	v_fma_f64 v[8:9], -v[33:34], v[23:24], v[29:30]
	v_fma_f64 v[23:24], v[31:32], v[23:24], -v[0:1]
	v_fma_f64 v[0:1], -v[31:32], v[21:22], v[2:3]
	v_fma_f64 v[2:3], v[33:34], v[21:22], v[6:7]
	v_fma_f64 v[6:7], v[31:32], v[21:22], v[8:9]
	;; [unrolled: 1-line block ×3, first 2 shown]
	ds_write_b128 v82, v[0:3] offset:6480
	ds_write_b128 v16, v[6:9] offset:32400
	ds_read_b128 v[0:3], v82 offset:7776
	ds_read_b128 v[6:9], v16 offset:31104
	global_load_dwordx4 v[21:24], v[14:15], off offset:1424
	s_waitcnt lgkmcnt(0)
	v_add_f64 v[14:15], v[0:1], v[6:7]
	v_add_f64 v[29:30], v[8:9], v[2:3]
	v_add_f64 v[31:32], v[0:1], -v[6:7]
	v_add_f64 v[0:1], v[2:3], -v[8:9]
	s_waitcnt vmcnt(3)
	v_fma_f64 v[2:3], v[31:32], v[12:13], v[14:15]
	v_fma_f64 v[6:7], v[29:30], v[12:13], v[0:1]
	v_fma_f64 v[8:9], -v[31:32], v[12:13], v[14:15]
	v_fma_f64 v[12:13], v[29:30], v[12:13], -v[0:1]
	v_add_co_u32 v14, s0, 0x3000, v4
	v_add_co_ci_u32_e64 v15, s0, 0, v5, s0
	v_fma_f64 v[0:1], -v[29:30], v[10:11], v[2:3]
	v_fma_f64 v[2:3], v[31:32], v[10:11], v[6:7]
	v_fma_f64 v[6:7], v[29:30], v[10:11], v[8:9]
	;; [unrolled: 1-line block ×3, first 2 shown]
	ds_write_b128 v82, v[0:3] offset:7776
	ds_write_b128 v16, v[6:9] offset:31104
	ds_read_b128 v[0:3], v82 offset:9072
	ds_read_b128 v[6:9], v16 offset:29808
	global_load_dwordx4 v[10:13], v[14:15], off offset:672
	s_waitcnt lgkmcnt(0)
	v_add_f64 v[29:30], v[0:1], v[6:7]
	v_add_f64 v[31:32], v[8:9], v[2:3]
	v_add_f64 v[33:34], v[0:1], -v[6:7]
	v_add_f64 v[0:1], v[2:3], -v[8:9]
	s_waitcnt vmcnt(3)
	v_fma_f64 v[2:3], v[33:34], v[19:20], v[29:30]
	v_fma_f64 v[6:7], v[31:32], v[19:20], v[0:1]
	v_fma_f64 v[8:9], -v[33:34], v[19:20], v[29:30]
	v_fma_f64 v[19:20], v[31:32], v[19:20], -v[0:1]
	v_fma_f64 v[0:1], -v[31:32], v[17:18], v[2:3]
	v_fma_f64 v[2:3], v[33:34], v[17:18], v[6:7]
	v_fma_f64 v[6:7], v[31:32], v[17:18], v[8:9]
	;; [unrolled: 1-line block ×3, first 2 shown]
	ds_write_b128 v82, v[0:3] offset:9072
	ds_write_b128 v16, v[6:9] offset:29808
	ds_read_b128 v[0:3], v82 offset:10368
	ds_read_b128 v[6:9], v16 offset:28512
	global_load_dwordx4 v[17:20], v[14:15], off offset:1968
	s_waitcnt lgkmcnt(0)
	v_add_f64 v[14:15], v[0:1], v[6:7]
	v_add_f64 v[29:30], v[8:9], v[2:3]
	v_add_f64 v[31:32], v[0:1], -v[6:7]
	v_add_f64 v[0:1], v[2:3], -v[8:9]
	s_waitcnt vmcnt(3)
	v_fma_f64 v[2:3], v[31:32], v[27:28], v[14:15]
	v_fma_f64 v[6:7], v[29:30], v[27:28], v[0:1]
	v_fma_f64 v[8:9], -v[31:32], v[27:28], v[14:15]
	v_fma_f64 v[14:15], v[29:30], v[27:28], -v[0:1]
	v_fma_f64 v[0:1], -v[29:30], v[25:26], v[2:3]
	v_fma_f64 v[2:3], v[31:32], v[25:26], v[6:7]
	v_fma_f64 v[6:7], v[29:30], v[25:26], v[8:9]
	;; [unrolled: 1-line block ×3, first 2 shown]
	v_add_co_u32 v14, s0, 0x3800, v4
	v_add_co_ci_u32_e64 v15, s0, 0, v5, s0
	ds_write_b128 v82, v[0:3] offset:10368
	ds_write_b128 v16, v[6:9] offset:28512
	ds_read_b128 v[0:3], v82 offset:11664
	ds_read_b128 v[6:9], v16 offset:27216
	global_load_dwordx4 v[25:28], v[14:15], off offset:1216
	s_waitcnt lgkmcnt(0)
	v_add_f64 v[14:15], v[0:1], v[6:7]
	v_add_f64 v[29:30], v[8:9], v[2:3]
	v_add_f64 v[31:32], v[0:1], -v[6:7]
	v_add_f64 v[0:1], v[2:3], -v[8:9]
	s_waitcnt vmcnt(3)
	v_fma_f64 v[2:3], v[31:32], v[23:24], v[14:15]
	v_fma_f64 v[6:7], v[29:30], v[23:24], v[0:1]
	v_fma_f64 v[8:9], -v[31:32], v[23:24], v[14:15]
	v_fma_f64 v[14:15], v[29:30], v[23:24], -v[0:1]
	v_fma_f64 v[0:1], -v[29:30], v[21:22], v[2:3]
	v_fma_f64 v[2:3], v[31:32], v[21:22], v[6:7]
	v_fma_f64 v[6:7], v[29:30], v[21:22], v[8:9]
	;; [unrolled: 1-line block ×3, first 2 shown]
	v_add_co_u32 v14, s0, 0x4000, v4
	v_add_co_ci_u32_e64 v15, s0, 0, v5, s0
	s_mov_b32 s0, s6
	ds_write_b128 v82, v[0:3] offset:11664
	ds_write_b128 v16, v[6:9] offset:27216
	ds_read_b128 v[0:3], v82 offset:12960
	ds_read_b128 v[4:7], v16 offset:25920
	global_load_dwordx4 v[21:24], v[14:15], off offset:464
	s_waitcnt lgkmcnt(0)
	v_add_f64 v[8:9], v[0:1], v[4:5]
	v_add_f64 v[29:30], v[6:7], v[2:3]
	v_add_f64 v[31:32], v[0:1], -v[4:5]
	v_add_f64 v[0:1], v[2:3], -v[6:7]
	s_waitcnt vmcnt(3)
	v_fma_f64 v[2:3], v[31:32], v[12:13], v[8:9]
	v_fma_f64 v[4:5], v[29:30], v[12:13], v[0:1]
	v_fma_f64 v[6:7], -v[31:32], v[12:13], v[8:9]
	v_fma_f64 v[8:9], v[29:30], v[12:13], -v[0:1]
	v_fma_f64 v[0:1], -v[29:30], v[10:11], v[2:3]
	v_fma_f64 v[2:3], v[31:32], v[10:11], v[4:5]
	v_fma_f64 v[4:5], v[29:30], v[10:11], v[6:7]
	v_fma_f64 v[6:7], v[31:32], v[10:11], v[8:9]
	ds_write_b128 v82, v[0:3] offset:12960
	ds_write_b128 v16, v[4:7] offset:25920
	ds_read_b128 v[4:7], v82 offset:14256
	ds_read_b128 v[8:11], v16 offset:24624
	global_load_dwordx4 v[0:3], v[14:15], off offset:1760
	s_waitcnt lgkmcnt(0)
	v_add_f64 v[12:13], v[4:5], v[8:9]
	v_add_f64 v[14:15], v[10:11], v[6:7]
	v_add_f64 v[29:30], v[4:5], -v[8:9]
	v_add_f64 v[4:5], v[6:7], -v[10:11]
	s_waitcnt vmcnt(3)
	v_fma_f64 v[6:7], v[29:30], v[19:20], v[12:13]
	v_fma_f64 v[8:9], v[14:15], v[19:20], v[4:5]
	v_fma_f64 v[10:11], -v[29:30], v[19:20], v[12:13]
	v_fma_f64 v[12:13], v[14:15], v[19:20], -v[4:5]
	v_fma_f64 v[4:5], -v[14:15], v[17:18], v[6:7]
	v_fma_f64 v[6:7], v[29:30], v[17:18], v[8:9]
	v_fma_f64 v[8:9], v[14:15], v[17:18], v[10:11]
	v_fma_f64 v[10:11], v[29:30], v[17:18], v[12:13]
	ds_write_b128 v82, v[4:7] offset:14256
	ds_write_b128 v16, v[8:11] offset:24624
	ds_read_b128 v[4:7], v82 offset:15552
	ds_read_b128 v[8:11], v16 offset:23328
	s_waitcnt lgkmcnt(0)
	v_add_f64 v[12:13], v[4:5], v[8:9]
	v_add_f64 v[14:15], v[10:11], v[6:7]
	v_add_f64 v[17:18], v[4:5], -v[8:9]
	v_add_f64 v[4:5], v[6:7], -v[10:11]
	s_waitcnt vmcnt(2)
	v_fma_f64 v[6:7], v[17:18], v[27:28], v[12:13]
	v_fma_f64 v[8:9], v[14:15], v[27:28], v[4:5]
	v_fma_f64 v[10:11], -v[17:18], v[27:28], v[12:13]
	v_fma_f64 v[12:13], v[14:15], v[27:28], -v[4:5]
	v_fma_f64 v[4:5], -v[14:15], v[25:26], v[6:7]
	v_fma_f64 v[6:7], v[17:18], v[25:26], v[8:9]
	v_fma_f64 v[8:9], v[14:15], v[25:26], v[10:11]
	v_fma_f64 v[10:11], v[17:18], v[25:26], v[12:13]
	ds_write_b128 v82, v[4:7] offset:15552
	ds_write_b128 v16, v[8:11] offset:23328
	ds_read_b128 v[4:7], v82 offset:16848
	ds_read_b128 v[8:11], v16 offset:22032
	;; [unrolled: 18-line block ×3, first 2 shown]
	buffer_store_dword v86, off, s[24:27], 0 offset:44 ; 4-byte Folded Spill
	v_mul_lo_u16 v86, 0xcd, v86
	s_waitcnt lgkmcnt(0)
	v_add_f64 v[17:18], v[8:9], v[12:13]
	v_add_f64 v[6:7], v[14:15], v[10:11]
	v_add_f64 v[8:9], v[8:9], -v[12:13]
	v_add_f64 v[14:15], v[10:11], -v[14:15]
	s_waitcnt vmcnt(0)
	v_fma_f64 v[4:5], v[8:9], v[2:3], v[17:18]
	v_fma_f64 v[10:11], v[6:7], v[2:3], v[14:15]
	v_fma_f64 v[12:13], -v[8:9], v[2:3], v[17:18]
	v_fma_f64 v[14:15], v[6:7], v[2:3], -v[14:15]
	v_mul_u32_u24_e32 v17, 10, v88
	v_fma_f64 v[2:3], -v[6:7], v[0:1], v[4:5]
	v_fma_f64 v[4:5], v[8:9], v[0:1], v[10:11]
	v_fma_f64 v[6:7], v[6:7], v[0:1], v[12:13]
	;; [unrolled: 1-line block ×3, first 2 shown]
	v_mov_b32_e32 v0, 0xcccd
	ds_write_b128 v82, v[2:5] offset:18144
	ds_write_b128 v16, v[6:9] offset:20736
	s_waitcnt lgkmcnt(0)
	s_waitcnt_vscnt null, 0x0
	s_barrier
	buffer_gl0_inv
	s_barrier
	buffer_gl0_inv
	ds_read_b128 v[1:4], v82 offset:7776
	ds_read_b128 v[5:8], v82 offset:9072
	;; [unrolled: 1-line block ×8, first 2 shown]
	ds_read_b128 v[34:37], v82
	ds_read_b128 v[38:41], v82 offset:1296
	ds_read_b128 v[42:45], v82 offset:3888
	;; [unrolled: 1-line block ×21, first 2 shown]
	s_waitcnt lgkmcnt(25)
	v_add_f64 v[78:79], v[9:10], v[18:19]
	s_waitcnt lgkmcnt(23)
	v_add_f64 v[92:93], v[1:2], v[26:27]
	v_add_f64 v[97:98], v[11:12], v[20:21]
	;; [unrolled: 1-line block ×3, first 2 shown]
	s_waitcnt lgkmcnt(21)
	v_add_f64 v[147:148], v[34:35], v[1:2]
	v_add_f64 v[149:150], v[36:37], v[3:4]
	v_add_f64 v[151:152], v[3:4], -v[28:29]
	v_add_f64 v[157:158], v[3:4], -v[11:12]
	;; [unrolled: 1-line block ×4, first 2 shown]
	s_waitcnt lgkmcnt(17)
	v_add_f64 v[171:172], v[42:43], v[50:51]
	v_add_f64 v[203:204], v[38:39], v[5:6]
	;; [unrolled: 1-line block ×7, first 2 shown]
	s_waitcnt lgkmcnt(3)
	v_add_f64 v[221:222], v[123:124], v[131:132]
	v_add_f64 v[179:180], v[50:51], -v[58:59]
	v_add_f64 v[195:196], v[74:75], -v[66:67]
	;; [unrolled: 1-line block ×7, first 2 shown]
	v_add_f64 v[173:174], v[44:45], v[52:53]
	v_add_f64 v[175:176], v[58:59], v[66:67]
	v_add_f64 v[181:182], v[58:59], -v[50:51]
	v_add_f64 v[183:184], v[60:61], v[68:69]
	v_add_f64 v[185:186], v[58:59], -v[66:67]
	v_add_f64 v[187:188], v[52:53], -v[60:61]
	;; [unrolled: 1-line block ×4, first 2 shown]
	v_add_f64 v[193:194], v[50:51], v[74:75]
	v_add_f64 v[52:53], v[52:53], v[76:77]
	v_add_f64 v[209:210], v[15:16], -v[24:25]
	v_add_f64 v[217:218], v[5:6], -v[13:14]
	;; [unrolled: 1-line block ×3, first 2 shown]
	v_add_f64 v[223:224], v[125:126], v[133:134]
	v_add_f64 v[225:226], v[104:105], v[115:116]
	;; [unrolled: 1-line block ×3, first 2 shown]
	s_waitcnt lgkmcnt(1)
	v_add_f64 v[229:230], v[131:132], v[139:140]
	v_add_f64 v[231:232], v[133:134], v[141:142]
	;; [unrolled: 1-line block ×6, first 2 shown]
	v_add_f64 v[241:242], v[13:14], -v[22:23]
	v_add_f64 v[243:244], v[7:8], -v[15:16]
	;; [unrolled: 1-line block ×3, first 2 shown]
	v_add_f64 v[247:248], v[46:47], v[54:55]
	v_add_f64 v[249:250], v[48:49], v[56:57]
	;; [unrolled: 1-line block ×4, first 2 shown]
	v_add_f64 v[147:148], v[131:132], -v[104:105]
	v_add_f64 v[149:150], v[104:105], -v[131:132]
	v_fma_f64 v[78:79], v[78:79], -0.5, v[34:35]
	v_fma_f64 v[34:35], v[92:93], -0.5, v[34:35]
	;; [unrolled: 1-line block ×4, first 2 shown]
	v_add_f64 v[108:109], v[104:105], -v[115:116]
	v_add_f64 v[58:59], v[171:172], v[58:59]
	v_add_f64 v[171:172], v[106:107], -v[133:134]
	v_fma_f64 v[207:208], v[207:208], -0.5, v[38:39]
	v_fma_f64 v[38:39], v[213:214], -0.5, v[38:39]
	;; [unrolled: 1-line block ×4, first 2 shown]
	v_add_f64 v[92:93], v[111:112], v[119:120]
	s_waitcnt lgkmcnt(0)
	v_add_f64 v[213:214], v[135:136], v[143:144]
	v_add_f64 v[13:14], v[203:204], v[13:14]
	v_add_f64 v[15:16], v[205:206], v[15:16]
	v_add_f64 v[203:204], v[113:114], v[121:122]
	v_add_f64 v[205:206], v[137:138], v[145:146]
	v_add_f64 v[104:105], v[221:222], v[104:105]
	v_add_f64 v[215:216], v[127:128], v[135:136]
	v_add_f64 v[221:222], v[129:130], v[137:138]
	v_add_f64 v[169:170], v[3:4], v[169:170]
	v_add_f64 v[3:4], v[117:118], -v[141:142]
	v_add_f64 v[167:168], v[28:29], -v[20:21]
	;; [unrolled: 1-line block ×6, first 2 shown]
	v_add_f64 v[179:180], v[179:180], v[195:196]
	v_add_f64 v[195:196], v[22:23], -v[30:31]
	v_add_f64 v[177:178], v[60:61], -v[68:69]
	;; [unrolled: 1-line block ×5, first 2 shown]
	v_add_f64 v[60:61], v[173:174], v[60:61]
	v_add_f64 v[173:174], v[64:65], -v[72:73]
	v_fma_f64 v[175:176], v[175:176], -0.5, v[42:43]
	v_fma_f64 v[42:43], v[193:194], -0.5, v[42:43]
	v_fma_f64 v[183:184], v[183:184], -0.5, v[44:45]
	v_fma_f64 v[44:45], v[52:53], -0.5, v[44:45]
	v_add_f64 v[52:53], v[54:55], -v[62:63]
	v_add_f64 v[193:194], v[62:63], -v[54:55]
	v_add_f64 v[106:107], v[223:224], v[106:107]
	v_fma_f64 v[223:224], v[225:226], -0.5, v[123:124]
	v_fma_f64 v[123:124], v[229:230], -0.5, v[123:124]
	;; [unrolled: 1-line block ×4, first 2 shown]
	v_add_f64 v[227:228], v[62:63], -v[70:71]
	v_add_f64 v[229:230], v[56:57], -v[64:65]
	v_fma_f64 v[231:232], v[233:234], -0.5, v[46:47]
	v_fma_f64 v[46:47], v[235:236], -0.5, v[46:47]
	;; [unrolled: 1-line block ×4, first 2 shown]
	v_add_f64 v[235:236], v[64:65], -v[56:57]
	v_add_f64 v[237:238], v[113:114], -v[121:122]
	v_add_f64 v[62:63], v[247:248], v[62:63]
	v_add_f64 v[64:65], v[249:250], v[64:65]
	v_add_f64 v[239:240], v[135:136], -v[111:112]
	v_add_f64 v[247:248], v[111:112], -v[135:136]
	v_fma_f64 v[249:250], v[92:93], -0.5, v[127:128]
	v_fma_f64 v[127:128], v[213:214], -0.5, v[127:128]
	;; [unrolled: 1-line block ×4, first 2 shown]
	v_add_f64 v[205:206], v[111:112], -v[119:120]
	v_add_f64 v[213:214], v[137:138], -v[113:114]
	v_add_f64 v[111:112], v[215:216], v[111:112]
	v_add_f64 v[215:216], v[221:222], v[113:114]
	v_add_f64 v[113:114], v[113:114], -v[137:138]
	v_add_f64 v[153:154], v[153:154], v[163:164]
	v_add_f64 v[163:164], v[139:140], -v[115:116]
	;; [unrolled: 2-line block ×3, first 2 shown]
	v_add_f64 v[50:51], v[50:51], -v[74:75]
	v_add_f64 v[157:158], v[157:158], v[167:168]
	v_add_f64 v[167:168], v[141:142], -v[117:118]
	v_add_f64 v[1:2], v[1:2], -v[26:27]
	;; [unrolled: 1-line block ×3, first 2 shown]
	v_add_f64 v[189:190], v[189:190], v[201:202]
	v_add_f64 v[201:202], v[217:218], v[251:252]
	v_mov_b32_e32 v251, v87
	v_add_f64 v[133:134], v[133:134], -v[141:142]
	v_add_f64 v[131:132], v[131:132], -v[139:140]
	v_add_f64 v[155:156], v[155:156], v[165:166]
	v_add_f64 v[165:166], v[115:116], -v[139:140]
	v_add_f64 v[181:182], v[181:182], v[197:198]
	v_add_f64 v[197:198], v[100:101], -v[70:71]
	v_add_f64 v[217:218], v[102:103], -v[72:73]
	v_add_f64 v[195:196], v[219:220], v[195:196]
	v_add_f64 v[219:220], v[72:73], -v[102:103]
	v_and_b32_e32 v92, 0xff, v251
	v_add_f64 v[54:55], v[54:55], -v[100:101]
	v_add_f64 v[137:138], v[137:138], -v[145:146]
	;; [unrolled: 1-line block ×3, first 2 shown]
	v_add_f64 v[187:188], v[187:188], v[199:200]
	v_add_f64 v[199:200], v[24:25], -v[32:33]
	v_add_f64 v[147:148], v[147:148], v[163:164]
	v_add_f64 v[163:164], v[143:144], -v[119:120]
	v_add_f64 v[113:114], v[113:114], v[3:4]
	v_add_f64 v[3:4], v[9:10], v[18:19]
	;; [unrolled: 1-line block ×6, first 2 shown]
	v_add_f64 v[5:6], v[5:6], -v[30:31]
	v_lshrrev_b16 v93, 11, v86
	v_lshl_add_u32 v86, v17, 4, 0
	v_mul_lo_u16 v17, 0xcd, v92
	v_add_f64 v[167:168], v[97:98], v[167:168]
	v_add_f64 v[11:12], v[58:59], v[66:67]
	;; [unrolled: 1-line block ×4, first 2 shown]
	v_lshrrev_b16 v98, 11, v17
	v_add_f64 v[17:18], v[60:61], v[68:69]
	v_add_f64 v[58:59], v[64:65], v[72:73]
	v_add_f64 v[60:61], v[111:112], v[119:120]
	v_add_f64 v[62:63], v[215:216], v[121:122]
	v_fma_f64 v[64:65], v[159:160], s[4:5], v[34:35]
	v_fma_f64 v[72:73], v[185:186], s[10:11], v[44:45]
	;; [unrolled: 1-line block ×6, first 2 shown]
	v_add_f64 v[221:222], v[243:244], v[221:222]
	v_add_f64 v[243:244], v[70:71], -v[100:101]
	v_fma_f64 v[68:69], v[161:162], s[10:11], v[36:37]
	v_fma_f64 v[70:71], v[1:2], s[4:5], v[90:91]
	;; [unrolled: 1-line block ×3, first 2 shown]
	v_add_f64 v[7:8], v[7:8], -v[32:33]
	v_add_f64 v[149:150], v[149:150], v[165:166]
	v_add_f64 v[165:166], v[119:120], -v[143:144]
	v_add_f64 v[52:53], v[52:53], v[197:198]
	v_add_f64 v[197:198], v[229:230], v[217:218]
	;; [unrolled: 1-line block ×3, first 2 shown]
	v_fma_f64 v[34:35], v[159:160], s[10:11], v[34:35]
	v_fma_f64 v[119:120], v[209:210], s[4:5], v[38:39]
	;; [unrolled: 1-line block ×9, first 2 shown]
	v_add_f64 v[56:57], v[56:57], -v[102:103]
	v_fma_f64 v[225:226], v[131:132], s[10:11], v[225:226]
	v_add_f64 v[199:200], v[245:246], v[199:200]
	v_add_f64 v[245:246], v[145:146], -v[121:122]
	v_add_f64 v[163:164], v[239:240], v[163:164]
	v_fma_f64 v[90:91], v[1:2], s[10:11], v[90:91]
	v_fma_f64 v[239:240], v[173:174], s[4:5], v[46:47]
	;; [unrolled: 1-line block ×3, first 2 shown]
	v_add_f64 v[25:26], v[3:4], v[26:27]
	v_add_f64 v[9:10], v[9:10], v[28:29]
	v_fma_f64 v[3:4], v[227:228], s[10:11], v[48:49]
	v_fma_f64 v[27:28], v[227:228], s[4:5], v[48:49]
	;; [unrolled: 1-line block ×4, first 2 shown]
	v_add_f64 v[13:14], v[13:14], v[30:31]
	v_add_f64 v[15:16], v[15:16], v[32:33]
	v_fma_f64 v[29:30], v[54:55], s[4:5], v[233:234]
	v_fma_f64 v[31:32], v[54:55], s[10:11], v[233:234]
	;; [unrolled: 1-line block ×3, first 2 shown]
	v_add_f64 v[19:20], v[19:20], v[139:140]
	v_fma_f64 v[139:140], v[137:138], s[10:11], v[249:250]
	v_fma_f64 v[66:67], v[151:152], s[10:11], v[78:79]
	;; [unrolled: 1-line block ×7, first 2 shown]
	v_add_f64 v[11:12], v[11:12], v[74:75]
	v_add_f64 v[17:18], v[17:18], v[76:77]
	;; [unrolled: 1-line block ×7, first 2 shown]
	v_fma_f64 v[64:65], v[151:152], s[6:7], v[64:65]
	v_fma_f64 v[72:73], v[50:51], s[0:1], v[72:73]
	;; [unrolled: 1-line block ×29, first 2 shown]
	v_add_f64 v[213:214], v[213:214], v[245:246]
	v_fma_f64 v[90:91], v[161:162], s[6:7], v[90:91]
	v_fma_f64 v[161:162], v[56:57], s[6:7], v[239:240]
	;; [unrolled: 1-line block ×17, first 2 shown]
	v_add_f64 v[1:2], v[25:26], v[11:12]
	v_add_f64 v[3:4], v[9:10], v[17:18]
	v_add_f64 v[5:6], v[25:26], -v[11:12]
	v_add_f64 v[7:8], v[9:10], -v[17:18]
	v_add_f64 v[9:10], v[13:14], v[19:20]
	v_add_f64 v[11:12], v[15:16], v[21:22]
	v_add_f64 v[13:14], v[13:14], -v[19:20]
	v_add_f64 v[15:16], v[15:16], -v[21:22]
	;; [unrolled: 4-line block ×3, first 2 shown]
	v_fma_f64 v[25:26], v[155:156], s[14:15], v[64:65]
	v_fma_f64 v[62:63], v[187:188], s[14:15], v[100:101]
	;; [unrolled: 1-line block ×25, first 2 shown]
	v_mov_b32_e32 v252, v89
	v_fma_f64 v[129:130], v[213:214], s[14:15], v[129:130]
	v_fma_f64 v[139:140], v[163:164], s[14:15], v[139:140]
	v_add_f64 v[165:166], v[247:248], v[165:166]
	v_fma_f64 v[72:73], v[153:154], s[14:15], v[78:79]
	v_and_b32_e32 v89, 0xff, v252
	v_fma_f64 v[78:79], v[157:158], s[14:15], v[90:91]
	v_fma_f64 v[90:91], v[179:180], s[14:15], v[106:107]
	;; [unrolled: 1-line block ×5, first 2 shown]
	v_add_f64 v[193:194], v[193:194], v[243:244]
	v_fma_f64 v[151:152], v[217:218], s[14:15], v[27:28]
	v_fma_f64 v[27:28], v[113:114], s[14:15], v[54:55]
	;; [unrolled: 1-line block ×5, first 2 shown]
	buffer_store_dword v251, off, s[24:27], 0 offset:52 ; 4-byte Folded Spill
	buffer_store_dword v252, off, s[24:27], 0 offset:4 ; 4-byte Folded Spill
	;; [unrolled: 1-line block ×3, first 2 shown]
	s_waitcnt_vscnt null, 0x0
	s_barrier
	buffer_gl0_inv
	ds_write_b128 v86, v[1:4]
	ds_write_b128 v86, v[5:8] offset:80
	ds_write_b128 v86, v[9:12] offset:12960
	;; [unrolled: 1-line block ×5, first 2 shown]
	v_mul_f64 v[1:2], v[62:63], s[6:7]
	v_mul_f64 v[3:4], v[64:65], s[0:1]
	v_fma_f64 v[50:51], v[181:182], s[14:15], v[50:51]
	v_mul_f64 v[5:6], v[60:61], s[10:11]
	v_mul_f64 v[7:8], v[60:61], s[14:15]
	v_fma_f64 v[41:42], v[181:182], s[14:15], v[42:43]
	v_mul_f64 v[9:10], v[44:45], s[10:11]
	v_mul_f64 v[11:12], v[44:45], s[16:17]
	;; [unrolled: 1-line block ×6, first 2 shown]
	v_fma_f64 v[121:122], v[149:150], s[14:15], v[121:122]
	v_mul_f64 v[21:22], v[117:118], s[10:11]
	v_mul_f64 v[23:24], v[117:118], s[14:15]
	v_fma_f64 v[104:105], v[201:202], s[14:15], v[131:132]
	v_fma_f64 v[131:132], v[199:200], s[14:15], v[39:40]
	;; [unrolled: 1-line block ×3, first 2 shown]
	v_mul_f64 v[43:44], v[37:38], s[10:11]
	v_mul_f64 v[37:38], v[37:38], s[16:17]
	v_fma_f64 v[145:146], v[241:242], s[6:7], v[211:212]
	v_fma_f64 v[119:120], v[201:202], s[14:15], v[133:134]
	;; [unrolled: 1-line block ×6, first 2 shown]
	v_mul_f64 v[52:53], v[108:109], s[6:7]
	v_mul_f64 v[56:57], v[108:109], s[12:13]
	;; [unrolled: 1-line block ×4, first 2 shown]
	v_fma_f64 v[48:49], v[165:166], s[14:15], v[74:75]
	v_mul_f64 v[74:75], v[29:30], s[10:11]
	v_mul_f64 v[29:30], v[29:30], s[14:15]
	v_fma_f64 v[149:150], v[193:194], s[14:15], v[46:47]
	v_fma_f64 v[46:47], v[165:166], s[14:15], v[76:77]
	v_mul_f64 v[76:77], v[27:28], s[10:11]
	v_mul_f64 v[27:28], v[27:28], s[16:17]
	v_fma_f64 v[137:138], v[197:198], s[14:15], v[31:32]
	v_fma_f64 v[31:32], v[163:164], s[14:15], v[141:142]
	v_mul_f64 v[108:109], v[54:55], s[6:7]
	v_mul_f64 v[54:55], v[54:55], s[12:13]
	v_fma_f64 v[66:67], v[153:154], s[14:15], v[66:67]
	v_fma_f64 v[64:65], v[64:65], s[18:19], v[1:2]
	v_fma_f64 v[62:63], v[62:63], s[18:19], v[3:4]
	;; [unrolled: 1-line block ×30, first 2 shown]
	v_add_f64 v[1:2], v[66:67], v[64:65]
	v_add_f64 v[3:4], v[68:69], v[62:63]
	;; [unrolled: 1-line block ×6, first 2 shown]
	v_add_f64 v[13:14], v[25:26], -v[113:114]
	v_add_f64 v[25:26], v[72:73], v[141:142]
	v_add_f64 v[27:28], v[78:79], v[90:91]
	v_add_f64 v[5:6], v[66:67], -v[64:65]
	v_add_f64 v[7:8], v[68:69], -v[62:63]
	;; [unrolled: 1-line block ×7, first 2 shown]
	v_add_f64 v[33:34], v[104:105], v[102:103]
	v_add_f64 v[35:36], v[106:107], v[100:101]
	;; [unrolled: 1-line block ×8, first 2 shown]
	v_mul_lo_u16 v88, 0xcd, v89
	v_add_f64 v[37:38], v[104:105], -v[102:103]
	v_add_f64 v[39:40], v[106:107], -v[100:101]
	;; [unrolled: 1-line block ×8, first 2 shown]
	v_add_f64 v[65:66], v[127:128], v[139:140]
	v_add_f64 v[67:68], v[143:144], v[129:130]
	v_mul_lo_u16 v87, v93, 10
	v_lshrrev_b16 v99, 11, v88
	v_add_f64 v[73:74], v[145:146], v[161:162]
	v_add_f64 v[75:76], v[147:148], v[163:164]
	;; [unrolled: 1-line block ×6, first 2 shown]
	v_add_f64 v[69:70], v[127:128], -v[139:140]
	v_add_f64 v[71:72], v[143:144], -v[129:130]
	;; [unrolled: 1-line block ×4, first 2 shown]
	v_sub_nc_u16 v97, v95, v87
	v_mul_u32_u24_sdwa v87, v96, v0 dst_sel:DWORD dst_unused:UNUSED_PAD src0_sel:WORD_0 src1_sel:DWORD
	v_add_f64 v[111:112], v[149:150], -v[165:166]
	v_add_f64 v[113:114], v[151:152], -v[167:168]
	v_add_f64 v[119:120], v[135:136], -v[108:109]
	v_add_f64 v[121:122], v[137:138], -v[169:170]
	ds_write_b128 v86, v[1:4] offset:16
	ds_write_b128 v86, v[9:12] offset:32
	;; [unrolled: 1-line block ×24, first 2 shown]
	v_mov_b32_e32 v253, v81
	v_mul_lo_u16 v3, v99, 10
	v_mul_u32_u24_sdwa v89, v85, v0 dst_sel:DWORD dst_unused:UNUSED_PAD src0_sel:WORD_0 src1_sel:DWORD
	v_mul_u32_u24_sdwa v2, v80, v0 dst_sel:DWORD dst_unused:UNUSED_PAD src0_sel:WORD_0 src1_sel:DWORD
	;; [unrolled: 1-line block ×4, first 2 shown]
	v_lshrrev_b32_e32 v103, 19, v87
	v_sub_nc_u16 v105, v252, v3
	v_mul_u32_u24_sdwa v3, v84, v0 dst_sel:DWORD dst_unused:UNUSED_PAD src0_sel:WORD_0 src1_sel:DWORD
	v_mul_u32_u24_sdwa v16, v83, v0 dst_sel:DWORD dst_unused:UNUSED_PAD src0_sel:WORD_0 src1_sel:DWORD
	v_mul_lo_u16 v88, v98, 10
	v_lshrrev_b32_e32 v101, 19, v89
	v_mul_lo_u16 v0, v103, 10
	v_lshrrev_b32_e32 v109, 19, v1
	v_lshrrev_b32_e32 v111, 19, v2
	;; [unrolled: 1-line block ×5, first 2 shown]
	v_sub_nc_u16 v104, v251, v88
	v_mul_lo_u16 v6, v101, 10
	v_sub_nc_u16 v107, v96, v0
	v_mul_lo_u16 v0, v109, 10
	v_mul_lo_u16 v5, v111, 10
	;; [unrolled: 1-line block ×5, first 2 shown]
	v_lshlrev_b32_sdwa v4, v94, v104 dst_sel:DWORD dst_unused:UNUSED_PAD src0_sel:DWORD src1_sel:BYTE_0
	v_sub_nc_u16 v106, v85, v6
	v_sub_nc_u16 v108, v253, v0
	;; [unrolled: 1-line block ×6, first 2 shown]
	v_lshlrev_b32_sdwa v110, v94, v97 dst_sel:DWORD dst_unused:UNUSED_PAD src0_sel:DWORD src1_sel:BYTE_0
	s_waitcnt lgkmcnt(0)
	s_barrier
	buffer_gl0_inv
	s_clause 0x1
	global_load_dwordx4 v[60:63], v4, s[8:9]
	global_load_dwordx4 v[72:75], v4, s[8:9] offset:16
	v_lshlrev_b32_sdwa v7, v94, v105 dst_sel:DWORD dst_unused:UNUSED_PAD src0_sel:DWORD src1_sel:BYTE_0
	v_lshlrev_b32_sdwa v1, v94, v106 dst_sel:DWORD dst_unused:UNUSED_PAD src0_sel:DWORD src1_sel:WORD_0
	v_lshlrev_b32_sdwa v4, v94, v107 dst_sel:DWORD dst_unused:UNUSED_PAD src0_sel:DWORD src1_sel:WORD_0
	v_lshlrev_b32_sdwa v20, v94, v108 dst_sel:DWORD dst_unused:UNUSED_PAD src0_sel:DWORD src1_sel:WORD_0
	v_lshlrev_b32_sdwa v28, v94, v112 dst_sel:DWORD dst_unused:UNUSED_PAD src0_sel:DWORD src1_sel:WORD_0
	v_lshlrev_b32_sdwa v40, v94, v114 dst_sel:DWORD dst_unused:UNUSED_PAD src0_sel:DWORD src1_sel:WORD_0
	v_lshlrev_b32_sdwa v42, v94, v116 dst_sel:DWORD dst_unused:UNUSED_PAD src0_sel:DWORD src1_sel:WORD_0
	v_lshlrev_b32_sdwa v76, v94, v118 dst_sel:DWORD dst_unused:UNUSED_PAD src0_sel:DWORD src1_sel:WORD_0
	buffer_store_dword v83, off, s[24:27], 0 ; 4-byte Folded Spill
	s_clause 0x11
	global_load_dwordx4 v[56:59], v110, s[8:9]
	global_load_dwordx4 v[32:35], v7, s[8:9] offset:16
	global_load_dwordx4 v[52:55], v110, s[8:9] offset:16
	global_load_dwordx4 v[64:67], v7, s[8:9]
	global_load_dwordx4 v[12:15], v1, s[8:9]
	global_load_dwordx4 v[8:11], v1, s[8:9] offset:16
	global_load_dwordx4 v[0:3], v4, s[8:9]
	global_load_dwordx4 v[4:7], v4, s[8:9] offset:16
	;; [unrolled: 2-line block ×7, first 2 shown]
	s_clause 0x1
	buffer_load_dword v81, off, s[24:27], 0 offset:44
	buffer_load_dword v83, off, s[24:27], 0 offset:56
	v_mov_b32_e32 v254, v96
	v_mov_b32_e32 v96, v80
	;; [unrolled: 1-line block ×5, first 2 shown]
	v_mul_u32_u24_e32 v91, 0x1e0, v101
	s_mov_b32 s4, 0xe8584caa
	s_mov_b32 s5, 0xbfebb67a
	v_mul_u32_u24_sdwa v90, v93, v86 dst_sel:DWORD dst_unused:UNUSED_PAD src0_sel:WORD_0 src1_sel:DWORD
	v_lshlrev_b32_sdwa v97, v84, v97 dst_sel:DWORD dst_unused:UNUSED_PAD src0_sel:DWORD src1_sel:BYTE_0
	v_mul_u32_u24_e32 v93, 0x1e0, v109
	v_mul_u32_u24_e32 v109, 0x1e0, v111
	;; [unrolled: 1-line block ×5, first 2 shown]
	v_add3_u32 v245, 0, v90, v97
	v_lshlrev_b32_sdwa v90, v84, v104 dst_sel:DWORD dst_unused:UNUSED_PAD src0_sel:DWORD src1_sel:BYTE_0
	v_lshlrev_b32_sdwa v97, v84, v105 dst_sel:DWORD dst_unused:UNUSED_PAD src0_sel:DWORD src1_sel:BYTE_0
	s_mov_b32 s7, 0x3febb67a
	s_mov_b32 s6, s4
	v_mov_b32_e32 v252, v85
	v_mov_b32_e32 v85, v82
	;; [unrolled: 1-line block ×3, first 2 shown]
	v_mul_u32_u24_sdwa v87, v252, v119 dst_sel:DWORD dst_unused:UNUSED_PAD src0_sel:WORD_0 src1_sel:DWORD
	v_mul_u32_u24_sdwa v88, v254, v119 dst_sel:DWORD dst_unused:UNUSED_PAD src0_sel:WORD_0 src1_sel:DWORD
	s_waitcnt vmcnt(1)
	v_mul_lo_u16 v81, 0x89, v81
	s_waitcnt vmcnt(0)
	v_mul_lo_u16 v89, 0x89, v83
	v_lshrrev_b16 v100, 12, v81
	v_mul_lo_u16 v81, 0x89, v92
	v_mul_u32_u24_e32 v92, 0x1e0, v103
	v_lshrrev_b16 v103, 12, v89
	v_mul_lo_u16 v110, v100, 30
	v_lshrrev_b16 v101, 12, v81
	v_mul_u32_u24_sdwa v81, v98, v86 dst_sel:DWORD dst_unused:UNUSED_PAD src0_sel:WORD_0 src1_sel:DWORD
	v_mul_u32_u24_sdwa v86, v99, v86 dst_sel:DWORD dst_unused:UNUSED_PAD src0_sel:WORD_0 src1_sel:DWORD
	v_lshlrev_b32_sdwa v98, v84, v106 dst_sel:DWORD dst_unused:UNUSED_PAD src0_sel:DWORD src1_sel:WORD_0
	v_sub_nc_u16 v99, v95, v110
	v_lshlrev_b32_sdwa v106, v84, v107 dst_sel:DWORD dst_unused:UNUSED_PAD src0_sel:DWORD src1_sel:WORD_0
	v_lshlrev_b32_sdwa v107, v84, v108 dst_sel:DWORD dst_unused:UNUSED_PAD src0_sel:DWORD src1_sel:WORD_0
	;; [unrolled: 1-line block ×6, first 2 shown]
	v_add3_u32 v247, 0, v92, v106
	v_add3_u32 v248, 0, v93, v107
	;; [unrolled: 1-line block ×5, first 2 shown]
	ds_read_b128 v[104:107], v82 offset:12960
	ds_read_b128 v[111:114], v82 offset:14256
	;; [unrolled: 1-line block ×20, first 2 shown]
	v_add3_u32 v246, 0, v91, v98
	v_add3_u32 v81, 0, v81, v90
	s_waitcnt lgkmcnt(19)
	v_mul_f64 v[90:91], v[106:107], v[58:59]
	v_mul_f64 v[58:59], v[104:105], v[58:59]
	s_waitcnt lgkmcnt(17)
	v_mul_f64 v[92:93], v[117:118], v[54:55]
	v_mul_f64 v[54:55], v[115:116], v[54:55]
	v_add3_u32 v86, 0, v86, v97
	v_mul_f64 v[97:98], v[113:114], v[62:63]
	v_mul_f64 v[62:63], v[111:112], v[62:63]
	v_add3_u32 v249, 0, v109, v108
	s_waitcnt lgkmcnt(16)
	v_mul_f64 v[108:109], v[122:123], v[74:75]
	v_mul_f64 v[74:75], v[120:121], v[74:75]
	s_waitcnt lgkmcnt(15)
	v_mul_f64 v[228:229], v[126:127], v[66:67]
	ds_read_b128 v[188:191], v82
	ds_read_b128 v[192:195], v82 offset:1296
	ds_read_b128 v[196:199], v82 offset:2592
	;; [unrolled: 1-line block ×9, first 2 shown]
	s_waitcnt lgkmcnt(0)
	s_waitcnt_vscnt null, 0x0
	s_barrier
	buffer_gl0_inv
	v_lshlrev_b32_sdwa v244, v94, v99 dst_sel:DWORD dst_unused:UNUSED_PAD src0_sel:DWORD src1_sel:BYTE_0
	v_mul_lo_u16 v89, v101, 30
	v_fma_f64 v[90:91], v[104:105], v[56:57], v[90:91]
	v_fma_f64 v[56:57], v[106:107], v[56:57], -v[58:59]
	v_mul_f64 v[58:59], v[124:125], v[66:67]
	v_mul_f64 v[66:67], v[134:135], v[34:35]
	v_mul_f64 v[34:35], v[132:133], v[34:35]
	v_mul_f64 v[104:105], v[130:131], v[14:15]
	v_fma_f64 v[92:93], v[115:116], v[52:53], v[92:93]
	v_fma_f64 v[52:53], v[117:118], v[52:53], -v[54:55]
	v_mul_f64 v[14:15], v[128:129], v[14:15]
	v_mul_f64 v[54:55], v[138:139], v[10:11]
	v_mul_f64 v[10:11], v[136:137], v[10:11]
	v_mul_f64 v[106:107], v[142:143], v[2:3]
	v_fma_f64 v[97:98], v[111:112], v[60:61], v[97:98]
	v_fma_f64 v[60:61], v[113:114], v[60:61], -v[62:63]
	v_mul_f64 v[2:3], v[140:141], v[2:3]
	v_mul_f64 v[62:63], v[150:151], v[6:7]
	v_mul_f64 v[6:7], v[148:149], v[6:7]
	v_mul_f64 v[111:112], v[146:147], v[18:19]
	v_fma_f64 v[108:109], v[120:121], v[72:73], v[108:109]
	v_fma_f64 v[72:73], v[122:123], v[72:73], -v[74:75]
	v_mul_f64 v[18:19], v[144:145], v[18:19]
	v_mul_f64 v[74:75], v[154:155], v[26:27]
	v_mul_f64 v[26:27], v[152:153], v[26:27]
	v_mul_f64 v[113:114], v[158:159], v[22:23]
	v_fma_f64 v[115:116], v[124:125], v[64:65], v[228:229]
	v_fma_f64 v[58:59], v[126:127], v[64:65], -v[58:59]
	v_mul_f64 v[22:23], v[156:157], v[22:23]
	v_mul_f64 v[64:65], v[166:167], v[38:39]
	v_mul_f64 v[38:39], v[164:165], v[38:39]
	v_mul_f64 v[117:118], v[162:163], v[30:31]
	v_fma_f64 v[66:67], v[132:133], v[32:33], v[66:67]
	v_fma_f64 v[32:33], v[134:135], v[32:33], -v[34:35]
	v_mul_f64 v[30:31], v[160:161], v[30:31]
	v_mul_f64 v[34:35], v[170:171], v[50:51]
	v_mul_f64 v[50:51], v[168:169], v[50:51]
	v_mul_f64 v[120:121], v[174:175], v[46:47]
	v_fma_f64 v[104:105], v[128:129], v[12:13], v[104:105]
	v_fma_f64 v[12:13], v[130:131], v[12:13], -v[14:15]
	v_mul_f64 v[14:15], v[172:173], v[46:47]
	v_mul_f64 v[46:47], v[182:183], v[42:43]
	v_mul_f64 v[42:43], v[180:181], v[42:43]
	v_mul_f64 v[122:123], v[178:179], v[70:71]
	v_fma_f64 v[54:55], v[136:137], v[8:9], v[54:55]
	v_fma_f64 v[124:125], v[138:139], v[8:9], -v[10:11]
	v_mul_f64 v[8:9], v[176:177], v[70:71]
	v_mul_f64 v[10:11], v[186:187], v[78:79]
	;; [unrolled: 1-line block ×3, first 2 shown]
	v_fma_f64 v[78:79], v[140:141], v[0:1], v[106:107]
	v_fma_f64 v[0:1], v[142:143], v[0:1], -v[2:3]
	v_fma_f64 v[62:63], v[148:149], v[4:5], v[62:63]
	v_fma_f64 v[106:107], v[150:151], v[4:5], -v[6:7]
	;; [unrolled: 2-line block ×12, first 2 shown]
	v_add_f64 v[10:11], v[90:91], v[92:93]
	v_add_f64 v[44:45], v[56:57], v[52:53]
	;; [unrolled: 1-line block ×12, first 2 shown]
	v_add_f64 v[50:51], v[56:57], -v[52:53]
	v_add_f64 v[56:57], v[90:91], -v[92:93]
	v_add_f64 v[90:91], v[192:193], v[97:98]
	v_add_f64 v[134:135], v[78:79], v[62:63]
	;; [unrolled: 1-line block ×19, first 2 shown]
	v_fma_f64 v[188:189], v[10:11], -0.5, v[188:189]
	v_fma_f64 v[190:191], v[44:45], -0.5, v[190:191]
	v_add_f64 v[60:61], v[60:61], -v[72:73]
	v_add_f64 v[97:98], v[97:98], -v[108:109]
	;; [unrolled: 1-line block ×3, first 2 shown]
	v_add_f64 v[150:151], v[208:209], v[2:3]
	v_add_f64 v[154:155], v[2:3], -v[74:75]
	v_add_f64 v[2:3], v[46:47], v[52:53]
	v_add_f64 v[0:1], v[48:49], v[92:93]
	v_fma_f64 v[48:49], v[68:69], -0.5, v[192:193]
	v_fma_f64 v[52:53], v[70:71], -0.5, v[194:195]
	v_add_f64 v[58:59], v[58:59], -v[32:33]
	v_add_f64 v[115:116], v[115:116], -v[66:67]
	v_fma_f64 v[68:69], v[111:112], -0.5, v[196:197]
	v_fma_f64 v[70:71], v[113:114], -0.5, v[198:199]
	v_add_f64 v[128:129], v[202:203], v[12:13]
	v_add_f64 v[132:133], v[12:13], -v[124:125]
	v_add_f64 v[104:105], v[104:105], -v[54:55]
	v_add_f64 v[140:141], v[204:205], v[78:79]
	v_add_f64 v[162:163], v[212:213], v[6:7]
	v_add_f64 v[230:231], v[6:7], -v[64:65]
	v_add_f64 v[240:241], v[8:9], -v[42:43]
	v_add_f64 v[6:7], v[76:77], v[72:73]
	v_add_f64 v[8:9], v[120:121], v[66:67]
	v_fma_f64 v[66:67], v[122:123], -0.5, v[200:201]
	v_fma_f64 v[72:73], v[126:127], -0.5, v[202:203]
	v_add_f64 v[148:149], v[210:211], v[4:5]
	v_add_f64 v[78:79], v[78:79], -v[62:63]
	v_add_f64 v[152:153], v[4:5], -v[24:25]
	v_add_f64 v[4:5], v[90:91], v[108:109]
	v_fma_f64 v[76:77], v[134:135], -0.5, v[204:205]
	v_fma_f64 v[90:91], v[136:137], -0.5, v[206:207]
	v_add_f64 v[170:171], v[216:217], v[18:19]
	v_add_f64 v[234:235], v[18:19], -v[28:29]
	v_add_f64 v[18:19], v[138:139], v[106:107]
	v_fma_f64 v[92:93], v[144:145], -0.5, v[208:209]
	v_fma_f64 v[106:107], v[146:147], -0.5, v[210:211]
	v_add_f64 v[160:161], v[214:215], v[16:17]
	;; [unrolled: 5-line block ×3, first 2 shown]
	v_add_f64 v[232:233], v[20:21], -v[30:31]
	v_fma_f64 v[122:123], v[164:165], -0.5, v[216:217]
	v_fma_f64 v[126:127], v[166:167], -0.5, v[218:219]
	v_add_f64 v[176:177], v[222:223], v[14:15]
	v_add_f64 v[236:237], v[14:15], -v[34:35]
	v_add_f64 v[238:239], v[22:23], -v[36:37]
	;; [unrolled: 1-line block ×3, first 2 shown]
	v_add_f64 v[12:13], v[130:131], v[54:55]
	v_fma_f64 v[130:131], v[172:173], -0.5, v[220:221]
	v_fma_f64 v[134:135], v[174:175], -0.5, v[222:223]
	v_add_f64 v[32:33], v[178:179], v[36:37]
	v_fma_f64 v[138:139], v[180:181], -0.5, v[224:225]
	v_fma_f64 v[144:145], v[182:183], -0.5, v[226:227]
	v_add_f64 v[38:39], v[184:185], v[42:43]
	v_add_f64 v[36:37], v[186:187], v[40:41]
	v_fma_f64 v[40:41], v[50:51], s[4:5], v[188:189]
	v_fma_f64 v[42:43], v[56:57], s[6:7], v[190:191]
	;; [unrolled: 1-line block ×4, first 2 shown]
	ds_write_b128 v245, v[0:3]
	v_fma_f64 v[0:1], v[60:61], s[4:5], v[48:49]
	v_fma_f64 v[2:3], v[97:98], s[6:7], v[52:53]
	v_fma_f64 v[48:49], v[60:61], s[6:7], v[48:49]
	v_fma_f64 v[50:51], v[97:98], s[4:5], v[52:53]
	v_fma_f64 v[52:53], v[58:59], s[4:5], v[68:69]
	v_fma_f64 v[54:55], v[115:116], s[6:7], v[70:71]
	v_fma_f64 v[56:57], v[58:59], s[6:7], v[68:69]
	v_fma_f64 v[58:59], v[115:116], s[4:5], v[70:71]
	v_add_f64 v[14:15], v[128:129], v[124:125]
	v_add_f64 v[16:17], v[140:141], v[62:63]
	v_fma_f64 v[60:61], v[132:133], s[4:5], v[66:67]
	v_fma_f64 v[62:63], v[104:105], s[6:7], v[72:73]
	v_add_f64 v[22:23], v[148:149], v[24:25]
	v_add_f64 v[24:25], v[162:163], v[64:65]
	v_fma_f64 v[64:65], v[132:133], s[6:7], v[66:67]
	v_fma_f64 v[66:67], v[104:105], s[4:5], v[72:73]
	;; [unrolled: 1-line block ×4, first 2 shown]
	v_add_f64 v[20:21], v[150:151], v[74:75]
	v_fma_f64 v[72:73], v[142:143], s[6:7], v[76:77]
	v_fma_f64 v[74:75], v[78:79], s[4:5], v[90:91]
	;; [unrolled: 1-line block ×6, first 2 shown]
	v_add_f64 v[26:27], v[160:161], v[26:27]
	v_fma_f64 v[111:112], v[228:229], s[4:5], v[108:109]
	v_fma_f64 v[113:114], v[230:231], s[6:7], v[117:118]
	;; [unrolled: 1-line block ×4, first 2 shown]
	v_add_f64 v[30:31], v[168:169], v[30:31]
	v_add_f64 v[28:29], v[170:171], v[28:29]
	v_fma_f64 v[120:121], v[232:233], s[4:5], v[122:123]
	v_fma_f64 v[124:125], v[232:233], s[6:7], v[122:123]
	;; [unrolled: 1-line block ×3, first 2 shown]
	v_add_f64 v[34:35], v[176:177], v[34:35]
	v_fma_f64 v[126:127], v[234:235], s[4:5], v[126:127]
	v_fma_f64 v[128:129], v[236:237], s[4:5], v[130:131]
	;; [unrolled: 1-line block ×9, first 2 shown]
	ds_write_b128 v245, v[40:43] offset:160
	ds_write_b128 v245, v[44:47] offset:320
	ds_write_b128 v81, v[4:7]
	ds_write_b128 v81, v[0:3] offset:160
	ds_write_b128 v81, v[48:51] offset:320
	ds_write_b128 v86, v[8:11]
	;; [unrolled: 3-line block ×9, first 2 shown]
	ds_write_b128 v251, v[136:139] offset:160
	ds_write_b128 v251, v[140:143] offset:320
	s_waitcnt lgkmcnt(0)
	s_barrier
	buffer_gl0_inv
	s_clause 0x2
	buffer_load_dword v82, off, s[24:27], 0 offset:52
	buffer_load_dword v84, off, s[24:27], 0 offset:4
	buffer_load_dword v47, off, s[24:27], 0
	s_clause 0x1
	global_load_dwordx4 v[0:3], v244, s[8:9] offset:320
	global_load_dwordx4 v[4:7], v244, s[8:9] offset:336
	v_lshrrev_b32_e32 v92, 20, v87
	v_mul_lo_u16 v8, v103, 30
	v_mul_u32_u24_sdwa v12, v253, v119 dst_sel:DWORD dst_unused:UNUSED_PAD src0_sel:WORD_0 src1_sel:DWORD
	v_mov_b32_e32 v34, v255
	v_mul_u32_u24_sdwa v13, v96, v119 dst_sel:DWORD dst_unused:UNUSED_PAD src0_sel:WORD_0 src1_sel:DWORD
	v_mul_lo_u16 v16, v92, 30
	v_lshrrev_b32_e32 v106, 20, v88
	v_lshrrev_b32_e32 v111, 20, v12
	v_mul_u32_u24_sdwa v15, v34, v119 dst_sel:DWORD dst_unused:UNUSED_PAD src0_sel:WORD_0 src1_sel:DWORD
	v_mul_u32_u24_sdwa v17, v80, v119 dst_sel:DWORD dst_unused:UNUSED_PAD src0_sel:WORD_0 src1_sel:DWORD
	v_sub_nc_u16 v107, v252, v16
	v_mul_lo_u16 v18, v106, 30
	v_lshrrev_b32_e32 v112, 20, v13
	v_mul_lo_u16 v13, v111, 30
	v_lshrrev_b32_e32 v114, 20, v15
	v_lshlrev_b32_sdwa v12, v94, v107 dst_sel:DWORD dst_unused:UNUSED_PAD src0_sel:DWORD src1_sel:WORD_0
	v_sub_nc_u16 v108, v254, v18
	v_mul_lo_u16 v18, v112, 30
	v_lshrrev_b32_e32 v116, 20, v17
	v_sub_nc_u16 v109, v253, v13
	s_clause 0x1
	global_load_dwordx4 v[24:27], v12, s[8:9] offset:320
	global_load_dwordx4 v[20:23], v12, s[8:9] offset:336
	v_mul_lo_u16 v33, v114, 30
	v_lshlrev_b32_sdwa v16, v94, v108 dst_sel:DWORD dst_unused:UNUSED_PAD src0_sel:DWORD src1_sel:WORD_0
	v_sub_nc_u16 v113, v96, v18
	v_mul_lo_u16 v41, v116, 30
	v_lshlrev_b32_sdwa v32, v94, v109 dst_sel:DWORD dst_unused:UNUSED_PAD src0_sel:DWORD src1_sel:WORD_0
	v_sub_nc_u16 v115, v34, v33
	buffer_store_dword v34, off, s[24:27], 0 offset:16 ; 4-byte Folded Spill
	v_lshlrev_b32_sdwa v40, v94, v113 dst_sel:DWORD dst_unused:UNUSED_PAD src0_sel:DWORD src1_sel:WORD_0
	v_sub_nc_u16 v117, v80, v41
	buffer_store_dword v80, off, s[24:27], 0 offset:12 ; 4-byte Folded Spill
	v_lshlrev_b32_sdwa v44, v94, v115 dst_sel:DWORD dst_unused:UNUSED_PAD src0_sel:DWORD src1_sel:WORD_0
	v_mov_b32_e32 v255, v96
	v_mov_b32_e32 v96, v95
	v_lshlrev_b32_sdwa v46, v94, v117 dst_sel:DWORD dst_unused:UNUSED_PAD src0_sel:DWORD src1_sel:WORD_0
	v_add_nc_u32_e32 v81, -9, v95
	v_mov_b32_e32 v86, 0x5a0
	v_mul_lo_u16 v88, 0xb7, v83
	v_cmp_gt_u32_e64 s0, 9, v96
	v_mov_b32_e32 v83, 4
	v_lshlrev_b32_e32 v97, 1, v95
	v_mov_b32_e32 v98, 0
	v_mul_u32_u24_e32 v93, 0x5a0, v106
	v_mul_u32_u24_e32 v106, 0x5a0, v112
	v_lshlrev_b32_sdwa v99, v83, v99 dst_sel:DWORD dst_unused:UNUSED_PAD src0_sel:DWORD src1_sel:BYTE_0
	v_mul_u32_u24_e32 v110, 0x5a0, v114
	v_lshlrev_b64 v[90:91], 4, v[97:98]
	v_mov_b32_e32 v122, v98
	v_mul_u32_u24_e32 v92, 0x5a0, v92
	v_mov_b32_e32 v120, 0x2d83
	v_mul_u32_u24_sdwa v87, v252, v120 dst_sel:DWORD dst_unused:UNUSED_PAD src0_sel:WORD_0 src1_sel:DWORD
	v_lshrrev_b32_e32 v102, 20, v87
	v_mov_b32_e32 v87, 0x795d
	s_waitcnt vmcnt(6)
	v_sub_nc_u16 v104, v82, v89
	s_waitcnt vmcnt(5)
	v_sub_nc_u16 v105, v84, v8
	s_waitcnt vmcnt(4)
	v_mul_u32_u24_sdwa v28, v47, v119 dst_sel:DWORD dst_unused:UNUSED_PAD src0_sel:WORD_0 src1_sel:DWORD
	v_cndmask_b32_e64 v80, v81, v82, s0
	v_mul_u32_u24_sdwa v89, v100, v86 dst_sel:DWORD dst_unused:UNUSED_PAD src0_sel:WORD_0 src1_sel:DWORD
	v_lshlrev_b32_sdwa v14, v94, v104 dst_sel:DWORD dst_unused:UNUSED_PAD src0_sel:DWORD src1_sel:BYTE_0
	v_lshlrev_b32_sdwa v19, v94, v105 dst_sel:DWORD dst_unused:UNUSED_PAD src0_sel:DWORD src1_sel:BYTE_0
	v_lshrrev_b32_e32 v119, 20, v28
	global_load_dwordx4 v[28:31], v32, s[8:9] offset:320
	v_mov_b32_e32 v95, v82
	s_clause 0x4
	global_load_dwordx4 v[8:11], v14, s[8:9] offset:320
	global_load_dwordx4 v[72:75], v14, s[8:9] offset:336
	;; [unrolled: 1-line block ×5, first 2 shown]
	v_mul_lo_u16 v45, v119, 30
	s_clause 0x6
	global_load_dwordx4 v[16:19], v16, s[8:9] offset:336
	global_load_dwordx4 v[36:39], v32, s[8:9] offset:336
	;; [unrolled: 1-line block ×7, first 2 shown]
	v_sub_nc_u16 v118, v47, v45
	v_lshlrev_b32_e32 v121, 1, v80
	v_mul_u32_u24_e32 v100, 0x5a0, v111
	v_mul_u32_u24_e32 v111, 0x5a0, v116
	;; [unrolled: 1-line block ×3, first 2 shown]
	v_lshlrev_b32_sdwa v76, v94, v118 dst_sel:DWORD dst_unused:UNUSED_PAD src0_sel:DWORD src1_sel:WORD_0
	s_clause 0x2
	global_load_dwordx4 v[44:47], v46, s[8:9] offset:336
	global_load_dwordx4 v[68:71], v76, s[8:9] offset:320
	;; [unrolled: 1-line block ×3, first 2 shown]
	v_lshrrev_b16 v82, 14, v88
	v_mul_u32_u24_sdwa v88, v101, v86 dst_sel:DWORD dst_unused:UNUSED_PAD src0_sel:WORD_0 src1_sel:DWORD
	v_mul_u32_u24_sdwa v86, v103, v86 dst_sel:DWORD dst_unused:UNUSED_PAD src0_sel:WORD_0 src1_sel:DWORD
	v_lshlrev_b32_sdwa v101, v83, v107 dst_sel:DWORD dst_unused:UNUSED_PAD src0_sel:DWORD src1_sel:WORD_0
	v_lshlrev_b32_sdwa v103, v83, v108 dst_sel:DWORD dst_unused:UNUSED_PAD src0_sel:DWORD src1_sel:WORD_0
	;; [unrolled: 1-line block ×7, first 2 shown]
	v_add3_u32 v89, 0, v89, v99
	v_lshlrev_b32_sdwa v99, v83, v104 dst_sel:DWORD dst_unused:UNUSED_PAD src0_sel:DWORD src1_sel:BYTE_0
	v_lshlrev_b32_sdwa v104, v83, v105 dst_sel:DWORD dst_unused:UNUSED_PAD src0_sel:DWORD src1_sel:BYTE_0
	buffer_store_dword v80, off, s[24:27], 0 offset:44 ; 4-byte Folded Spill
	v_add_co_u32 v80, s0, s8, v90
	v_add_co_ci_u32_e64 v81, s0, s9, v91, s0
	v_lshlrev_b64 v[90:91], 4, v[121:122]
	v_add3_u32 v93, 0, v93, v103
	v_add3_u32 v119, 0, v106, v108
	;; [unrolled: 1-line block ×6, first 2 shown]
	ds_read_b128 v[103:106], v85 offset:12960
	ds_read_b128 v[111:114], v85 offset:14256
	;; [unrolled: 1-line block ×20, first 2 shown]
	v_add3_u32 v92, 0, v92, v101
	v_add3_u32 v101, 0, v100, v107
	;; [unrolled: 1-line block ×3, first 2 shown]
	s_waitcnt vmcnt(19) lgkmcnt(19)
	v_mul_f64 v[99:100], v[105:106], v[2:3]
	v_mul_f64 v[2:3], v[103:104], v[2:3]
	s_waitcnt vmcnt(18) lgkmcnt(17)
	v_mul_f64 v[107:108], v[117:118], v[6:7]
	v_mul_f64 v[6:7], v[115:116], v[6:7]
	ds_read_b128 v[189:192], v85
	ds_read_b128 v[193:196], v85 offset:1296
	ds_read_b128 v[197:200], v85 offset:2592
	;; [unrolled: 1-line block ×9, first 2 shown]
	s_waitcnt vmcnt(0) lgkmcnt(0)
	s_waitcnt_vscnt null, 0x0
	s_barrier
	buffer_gl0_inv
	v_fma_f64 v[99:100], v[103:104], v[0:1], v[99:100]
	v_fma_f64 v[0:1], v[105:106], v[0:1], -v[2:3]
	v_mul_f64 v[103:104], v[131:132], v[26:27]
	v_fma_f64 v[105:106], v[115:116], v[4:5], v[107:108]
	v_fma_f64 v[4:5], v[117:118], v[4:5], -v[6:7]
	v_mul_f64 v[6:7], v[129:130], v[26:27]
	v_mul_f64 v[26:27], v[139:140], v[22:23]
	v_mul_f64 v[22:23], v[137:138], v[22:23]
	v_fma_f64 v[103:104], v[129:130], v[24:25], v[103:104]
	v_fma_f64 v[6:7], v[131:132], v[24:25], -v[6:7]
	v_fma_f64 v[26:27], v[137:138], v[20:21], v[26:27]
	v_fma_f64 v[20:21], v[139:140], v[20:21], -v[22:23]
	v_add_f64 v[139:140], v[201:202], v[103:104]
	v_add_f64 v[137:138], v[203:204], v[6:7]
	v_mul_f64 v[229:230], v[113:114], v[10:11]
	v_mul_f64 v[10:11], v[111:112], v[10:11]
	;; [unrolled: 1-line block ×13, first 2 shown]
	v_fma_f64 v[111:112], v[111:112], v[8:9], v[229:230]
	v_fma_f64 v[8:9], v[113:114], v[8:9], -v[10:11]
	v_mul_f64 v[10:11], v[141:142], v[14:15]
	v_mul_f64 v[14:15], v[151:152], v[18:19]
	v_mul_f64 v[18:19], v[149:150], v[18:19]
	v_mul_f64 v[113:114], v[147:148], v[30:31]
	v_fma_f64 v[115:116], v[121:122], v[72:73], v[231:232]
	v_fma_f64 v[72:73], v[123:124], v[72:73], -v[74:75]
	v_mul_f64 v[30:31], v[145:146], v[30:31]
	v_mul_f64 v[74:75], v[155:156], v[38:39]
	v_mul_f64 v[38:39], v[153:154], v[38:39]
	v_fma_f64 v[121:122], v[125:126], v[64:65], v[233:234]
	v_fma_f64 v[2:3], v[127:128], v[64:65], -v[2:3]
	v_mul_f64 v[64:65], v[167:168], v[58:59]
	v_mul_f64 v[58:59], v[165:166], v[58:59]
	v_mul_f64 v[123:124], v[163:164], v[42:43]
	;; [unrolled: 5-line block ×3, first 2 shown]
	v_mul_f64 v[125:126], v[175:176], v[50:51]
	v_mul_f64 v[50:51], v[183:184], v[46:47]
	;; [unrolled: 1-line block ×6, first 2 shown]
	v_fma_f64 v[107:108], v[141:142], v[12:13], v[107:108]
	v_fma_f64 v[10:11], v[143:144], v[12:13], -v[10:11]
	v_fma_f64 v[129:130], v[149:150], v[16:17], v[14:15]
	v_fma_f64 v[16:17], v[151:152], v[16:17], -v[18:19]
	;; [unrolled: 2-line block ×12, first 2 shown]
	v_add_f64 v[60:61], v[99:100], v[105:106]
	v_add_f64 v[62:63], v[0:1], v[4:5]
	;; [unrolled: 1-line block ×6, first 2 shown]
	v_add_f64 v[74:75], v[99:100], -v[105:106]
	v_add_f64 v[99:100], v[195:196], v[8:9]
	v_add_f64 v[117:118], v[8:9], -v[72:73]
	v_add_f64 v[8:9], v[121:122], v[66:67]
	v_add_f64 v[123:124], v[2:3], v[52:53]
	;; [unrolled: 1-line block ×14, first 2 shown]
	v_add_f64 v[173:174], v[32:33], -v[36:37]
	v_add_f64 v[32:33], v[38:39], v[42:43]
	v_add_f64 v[175:176], v[40:41], v[54:55]
	v_add_f64 v[70:71], v[0:1], -v[4:5]
	v_add_f64 v[159:160], v[209:210], v[12:13]
	v_add_f64 v[179:180], v[217:218], v[38:39]
	;; [unrolled: 1-line block ×8, first 2 shown]
	v_add_f64 v[245:246], v[56:57], -v[48:49]
	v_add_f64 v[249:250], v[46:47], -v[50:51]
	v_fma_f64 v[46:47], v[60:61], -0.5, v[189:190]
	v_fma_f64 v[56:57], v[62:63], -0.5, v[191:192]
	v_add_f64 v[171:172], v[213:214], v[18:19]
	v_add_f64 v[185:186], v[223:224], v[24:25]
	v_add_f64 v[111:112], v[111:112], -v[115:116]
	v_add_f64 v[131:132], v[2:3], -v[52:53]
	v_add_f64 v[2:3], v[64:65], v[4:5]
	v_add_f64 v[0:1], v[68:69], v[105:106]
	v_fma_f64 v[60:61], v[76:77], -0.5, v[193:194]
	v_fma_f64 v[62:63], v[78:79], -0.5, v[195:196]
	v_add_f64 v[121:122], v[121:122], -v[66:67]
	v_add_f64 v[157:158], v[211:212], v[14:15]
	v_add_f64 v[177:178], v[219:220], v[40:41]
	v_fma_f64 v[64:65], v[8:9], -0.5, v[197:198]
	v_fma_f64 v[68:69], v[123:124], -0.5, v[199:200]
	v_add_f64 v[233:234], v[227:228], v[22:23]
	v_add_f64 v[141:142], v[6:7], -v[20:21]
	v_add_f64 v[103:104], v[103:104], -v[26:27]
	v_add_f64 v[6:7], v[99:100], v[72:73]
	v_add_f64 v[8:9], v[127:128], v[66:67]
	v_fma_f64 v[66:67], v[133:134], -0.5, v[201:202]
	v_fma_f64 v[72:73], v[135:136], -0.5, v[203:204]
	v_add_f64 v[147:148], v[207:208], v[10:11]
	v_add_f64 v[149:150], v[205:206], v[107:108]
	v_add_f64 v[151:152], v[10:11], -v[16:17]
	v_add_f64 v[107:108], v[107:108], -v[129:130]
	v_fma_f64 v[76:77], v[143:144], -0.5, v[205:206]
	v_fma_f64 v[78:79], v[145:146], -0.5, v[207:208]
	v_add_f64 v[161:162], v[14:15], -v[30:31]
	v_add_f64 v[163:164], v[12:13], -v[28:29]
	v_fma_f64 v[99:100], v[153:154], -0.5, v[209:210]
	v_fma_f64 v[105:106], v[155:156], -0.5, v[211:212]
	v_add_f64 v[237:238], v[18:19], -v[34:35]
	v_add_f64 v[4:5], v[113:114], v[115:116]
	v_fma_f64 v[113:114], v[165:166], -0.5, v[213:214]
	v_fma_f64 v[123:124], v[167:168], -0.5, v[215:216]
	v_add_f64 v[239:240], v[40:41], -v[54:55]
	v_add_f64 v[241:242], v[38:39], -v[42:43]
	v_add_f64 v[10:11], v[125:126], v[52:53]
	v_fma_f64 v[125:126], v[32:33], -0.5, v[217:218]
	v_fma_f64 v[127:128], v[175:176], -0.5, v[219:220]
	v_add_f64 v[243:244], v[24:25], -v[44:45]
	v_add_f64 v[247:248], v[22:23], -v[58:59]
	v_add_f64 v[14:15], v[137:138], v[20:21]
	v_add_f64 v[12:13], v[139:140], v[26:27]
	;; [unrolled: 1-line block ×4, first 2 shown]
	v_fma_f64 v[133:134], v[181:182], -0.5, v[221:222]
	v_fma_f64 v[135:136], v[183:184], -0.5, v[223:224]
	;; [unrolled: 1-line block ×4, first 2 shown]
	v_fma_f64 v[40:41], v[70:71], s[4:5], v[46:47]
	v_fma_f64 v[42:43], v[74:75], s[6:7], v[56:57]
	v_add_f64 v[24:25], v[171:172], v[34:35]
	v_add_f64 v[34:35], v[185:186], v[44:45]
	v_fma_f64 v[44:45], v[70:71], s[6:7], v[46:47]
	v_fma_f64 v[46:47], v[74:75], s[4:5], v[56:57]
	ds_write_b128 v89, v[0:3]
	v_fma_f64 v[0:1], v[117:118], s[4:5], v[60:61]
	v_fma_f64 v[2:3], v[111:112], s[6:7], v[62:63]
	v_add_f64 v[26:27], v[169:170], v[36:37]
	v_add_f64 v[32:33], v[187:188], v[48:49]
	;; [unrolled: 1-line block ×3, first 2 shown]
	v_fma_f64 v[48:49], v[117:118], s[6:7], v[60:61]
	v_fma_f64 v[50:51], v[111:112], s[4:5], v[62:63]
	v_add_f64 v[22:23], v[157:158], v[30:31]
	v_add_f64 v[30:31], v[177:178], v[54:55]
	v_fma_f64 v[52:53], v[131:132], s[4:5], v[64:65]
	v_fma_f64 v[54:55], v[121:122], s[6:7], v[68:69]
	v_add_f64 v[38:39], v[233:234], v[58:59]
	v_fma_f64 v[56:57], v[131:132], s[6:7], v[64:65]
	v_fma_f64 v[58:59], v[121:122], s[4:5], v[68:69]
	;; [unrolled: 1-line block ×6, first 2 shown]
	v_add_f64 v[18:19], v[147:148], v[16:17]
	v_add_f64 v[16:17], v[149:150], v[129:130]
	v_fma_f64 v[68:69], v[151:152], s[4:5], v[76:77]
	v_fma_f64 v[70:71], v[107:108], s[6:7], v[78:79]
	;; [unrolled: 1-line block ×24, first 2 shown]
	ds_write_b128 v89, v[40:43] offset:480
	ds_write_b128 v89, v[44:47] offset:960
	ds_write_b128 v88, v[4:7]
	ds_write_b128 v88, v[0:3] offset:480
	ds_write_b128 v88, v[48:51] offset:960
	ds_write_b128 v86, v[8:11]
	;; [unrolled: 3-line block ×9, first 2 shown]
	ds_write_b128 v251, v[137:140] offset:480
	ds_write_b128 v251, v[141:144] offset:960
	s_waitcnt lgkmcnt(0)
	s_barrier
	buffer_gl0_inv
	v_mov_b32_e32 v34, v253
	v_mov_b32_e32 v253, v255
	s_clause 0x2
	buffer_load_dword v255, off, s[24:27], 0 offset:16
	buffer_load_dword v35, off, s[24:27], 0 offset:12
	buffer_load_dword v83, off, s[24:27], 0
	v_mul_u32_u24_sdwa v24, v34, v120 dst_sel:DWORD dst_unused:UNUSED_PAD src0_sel:WORD_0 src1_sel:DWORD
	v_mul_u32_u24_sdwa v28, v253, v120 dst_sel:DWORD dst_unused:UNUSED_PAD src0_sel:WORD_0 src1_sel:DWORD
	;; [unrolled: 1-line block ×3, first 2 shown]
	v_mul_lo_u16 v16, 0x5a, v102
	v_mul_lo_u16 v0, 0x5a, v82
	v_lshrrev_b32_e32 v104, 20, v24
	v_lshrrev_b32_e32 v112, 20, v28
	;; [unrolled: 1-line block ×3, first 2 shown]
	v_sub_nc_u16 v100, v252, v16
	v_sub_nc_u16 v99, v84, v0
	v_mul_lo_u16 v28, 0x5a, v104
	v_add_co_u32 v12, s0, s8, v90
	v_mul_lo_u16 v32, 0x5a, v103
	v_lshlrev_b32_sdwa v30, v94, v100 dst_sel:DWORD dst_unused:UNUSED_PAD src0_sel:DWORD src1_sel:WORD_0
	v_sub_nc_u16 v107, v34, v28
	v_add_co_ci_u32_e64 v13, s0, s9, v91, s0
	v_sub_nc_u16 v105, v254, v32
	v_lshlrev_b32_sdwa v20, v94, v99 dst_sel:DWORD dst_unused:UNUSED_PAD src0_sel:DWORD src1_sel:BYTE_0
	buffer_store_dword v34, off, s[24:27], 0 offset:36 ; 4-byte Folded Spill
	s_clause 0x1
	global_load_dwordx4 v[24:27], v30, s[8:9] offset:1280
	global_load_dwordx4 v[40:43], v30, s[8:9] offset:1296
	v_lshlrev_b32_sdwa v30, v94, v105 dst_sel:DWORD dst_unused:UNUSED_PAD src0_sel:DWORD src1_sel:WORD_0
	v_mov_b32_e32 v89, v96
	buffer_store_dword v254, off, s[24:27], 0 offset:40 ; 4-byte Folded Spill
	buffer_store_dword v252, off, s[24:27], 0 offset:48 ; 4-byte Folded Spill
	global_load_dwordx4 v[8:11], v[80:81], off offset:1280
	v_mov_b32_e32 v126, v82
	global_load_dwordx4 v[4:7], v[80:81], off offset:1296
	v_mov_b32_e32 v82, v84
	s_clause 0x3
	global_load_dwordx4 v[0:3], v[12:13], off offset:1280
	global_load_dwordx4 v[16:19], v20, s[8:9] offset:1280
	global_load_dwordx4 v[72:75], v30, s[8:9] offset:1280
	;; [unrolled: 1-line block ×3, first 2 shown]
	v_add_nc_u32_e32 v119, 0x6c, v97
	v_add_nc_u32_e32 v97, 0x10e, v97
	v_mov_b32_e32 v91, v98
	v_mov_b32_e32 v96, v98
	;; [unrolled: 1-line block ×4, first 2 shown]
	v_mul_u32_u24_e32 v110, 0x10e0, v112
	s_waitcnt vmcnt(10)
	v_mul_u32_u24_sdwa v29, v255, v120 dst_sel:DWORD dst_unused:UNUSED_PAD src0_sel:WORD_0 src1_sel:DWORD
	s_waitcnt vmcnt(9)
	v_mul_u32_u24_sdwa v31, v35, v120 dst_sel:DWORD dst_unused:UNUSED_PAD src0_sel:WORD_0 src1_sel:DWORD
	;; [unrolled: 2-line block ×3, first 2 shown]
	v_mov_b32_e32 v84, v35
	v_mov_b32_e32 v120, v98
	v_lshrrev_b32_e32 v113, 20, v29
	v_lshrrev_b32_e32 v114, 20, v31
	;; [unrolled: 1-line block ×3, first 2 shown]
	v_mul_lo_u16 v29, 0x5a, v112
	v_lshlrev_b64 v[119:120], 4, v[119:120]
	v_mul_lo_u16 v31, 0x5a, v113
	v_mul_lo_u16 v32, 0x5a, v114
	;; [unrolled: 1-line block ×3, first 2 shown]
	v_sub_nc_u16 v130, v253, v29
	v_lshlrev_b32_sdwa v29, v94, v107 dst_sel:DWORD dst_unused:UNUSED_PAD src0_sel:DWORD src1_sel:WORD_0
	v_sub_nc_u16 v127, v255, v31
	v_sub_nc_u16 v111, v35, v32
	;; [unrolled: 1-line block ×3, first 2 shown]
	v_lshlrev_b32_sdwa v34, v94, v130 dst_sel:DWORD dst_unused:UNUSED_PAD src0_sel:DWORD src1_sel:WORD_0
	global_load_dwordx4 v[60:63], v29, s[8:9] offset:1280
	v_lshlrev_b32_sdwa v49, v94, v127 dst_sel:DWORD dst_unused:UNUSED_PAD src0_sel:DWORD src1_sel:WORD_0
	v_lshlrev_b32_sdwa v50, v94, v111 dst_sel:DWORD dst_unused:UNUSED_PAD src0_sel:DWORD src1_sel:WORD_0
	v_and_b32_e32 v128, 0xffff, v48
	s_clause 0x3
	global_load_dwordx4 v[20:23], v20, s[8:9] offset:1296
	global_load_dwordx4 v[28:31], v29, s[8:9] offset:1296
	;; [unrolled: 1-line block ×4, first 2 shown]
	v_lshlrev_b32_e32 v76, 5, v128
	s_clause 0x6
	global_load_dwordx4 v[32:35], v34, s[8:9] offset:1296
	global_load_dwordx4 v[12:15], v[12:13], off offset:1296
	global_load_dwordx4 v[64:67], v49, s[8:9] offset:1296
	global_load_dwordx4 v[52:55], v50, s[8:9] offset:1280
	;; [unrolled: 1-line block ×5, first 2 shown]
	buffer_store_dword v89, off, s[24:27], 0 offset:20 ; 4-byte Folded Spill
	buffer_store_dword v90, off, s[24:27], 0 offset:24 ; 4-byte Folded Spill
	buffer_store_dword v97, off, s[24:27], 0 offset:4 ; 4-byte Folded Spill
	buffer_store_dword v98, off, s[24:27], 0 offset:8 ; 4-byte Folded Spill
	buffer_store_dword v253, off, s[24:27], 0 offset:60 ; 4-byte Folded Spill
	v_lshlrev_b32_e32 v90, 1, v95
	v_lshlrev_b32_e32 v95, 1, v82
	v_mov_b32_e32 v82, v84
	buffer_load_dword v84, off, s[24:27], 0 offset:44 ; 4-byte Folded Reload
	v_mul_u32_u24_e32 v129, 0x10e0, v113
	v_lshlrev_b64 v[90:91], 4, v[90:91]
	v_lshlrev_b64 v[121:122], 4, v[95:96]
	v_mov_b32_e32 v96, v81
	v_mov_b32_e32 v95, v80
	v_mul_u32_u24_e32 v125, 0x10e0, v114
	v_mul_u32_u24_sdwa v92, v82, v87 dst_sel:DWORD dst_unused:UNUSED_PAD src0_sel:WORD_0 src1_sel:DWORD
	v_mov_b32_e32 v80, 4
	v_lshlrev_b32_sdwa v100, v80, v100 dst_sel:DWORD dst_unused:UNUSED_PAD src0_sel:DWORD src1_sel:WORD_0
	v_lshlrev_b32_sdwa v105, v80, v105 dst_sel:DWORD dst_unused:UNUSED_PAD src0_sel:DWORD src1_sel:WORD_0
	;; [unrolled: 1-line block ×4, first 2 shown]
	v_add3_u32 v81, 0, v129, v127
	v_cmp_lt_u32_e64 s0, 8, v89
	v_subrev_nc_u32_e32 v86, 27, v89
	v_lshlrev_b64 v[123:124], 4, v[97:98]
	v_mul_u32_u24_e32 v98, 0x10e0, v104
	v_cndmask_b32_e64 v88, 0, 0x10e0, s0
	v_cmp_gt_u32_e64 s0, 27, v89
	s_waitcnt vmcnt(0)
	v_lshlrev_b32_e32 v93, 4, v84
	v_mul_u32_u24_sdwa v89, v255, v87 dst_sel:DWORD dst_unused:UNUSED_PAD src0_sel:WORD_0 src1_sel:DWORD
	v_cndmask_b32_e64 v115, v86, v252, s0
	v_add_co_u32 v108, s0, s8, v90
	v_add_co_ci_u32_e64 v104, s0, s9, v91, s0
	v_add_co_u32 v106, s0, s8, v121
	v_add3_u32 v101, 0, v88, v93
	v_mul_u32_u24_e32 v93, 0x10e0, v103
	v_add_co_ci_u32_e64 v103, s0, s9, v122, s0
	v_add_co_u32 v119, s0, s8, v119
	v_lshlrev_b32_e32 v117, 1, v115
	v_add_co_ci_u32_e64 v120, s0, s9, v120, s0
	v_add_co_u32 v121, s0, s8, v123
	v_add_co_ci_u32_e64 v122, s0, s9, v124, s0
	v_lshlrev_b64 v[113:114], 4, v[117:118]
	v_add_co_u32 v90, s0, 0x1000, v95
	v_add_co_ci_u32_e64 v91, s0, 0, v96, s0
	v_add_co_u32 v200, s0, 0x1040, v95
	v_add_co_ci_u32_e64 v201, s0, 0, v96, s0
	v_add_co_u32 v123, s0, s8, v113
	v_mul_u32_u24_sdwa v124, v126, v116 dst_sel:DWORD dst_unused:UNUSED_PAD src0_sel:WORD_0 src1_sel:DWORD
	v_add_co_ci_u32_e64 v126, s0, s9, v114, s0
	v_add_co_u32 v113, s0, 0x1000, v108
	v_add_co_ci_u32_e64 v114, s0, 0, v104, s0
	v_add_co_u32 v202, s0, 0x1040, v108
	;; [unrolled: 2-line block ×4, first 2 shown]
	v_mul_u32_u24_sdwa v86, v253, v87 dst_sel:DWORD dst_unused:UNUSED_PAD src0_sel:WORD_0 src1_sel:DWORD
	v_mul_u32_u24_sdwa v87, v83, v87 dst_sel:DWORD dst_unused:UNUSED_PAD src0_sel:WORD_0 src1_sel:DWORD
	v_add_co_ci_u32_e64 v207, s0, 0, v103, s0
	v_add_co_u32 v208, s0, 0x1000, v119
	v_add_co_ci_u32_e64 v209, s0, 0, v120, s0
	v_add_co_u32 v210, s0, 0x1040, v119
	v_lshrrev_b32_e32 v87, 23, v87
	v_add_co_ci_u32_e64 v211, s0, 0, v120, s0
	v_add_co_u32 v212, s0, 0x1000, v121
	v_add_co_ci_u32_e64 v213, s0, 0, v122, s0
	v_lshrrev_b32_e32 v84, 23, v86
	v_lshrrev_b32_e32 v86, 23, v89
	v_mul_lo_u16 v87, 0x10e, v87
	v_add_co_u32 v214, s0, 0x1040, v121
	v_lshlrev_b32_sdwa v120, v80, v107 dst_sel:DWORD dst_unused:UNUSED_PAD src0_sel:DWORD src1_sel:WORD_0
	v_lshlrev_b32_sdwa v121, v80, v130 dst_sel:DWORD dst_unused:UNUSED_PAD src0_sel:DWORD src1_sel:WORD_0
	v_add_co_ci_u32_e64 v215, s0, 0, v122, s0
	v_add_co_u32 v216, s0, 0x1000, v123
	v_lshrrev_b32_e32 v89, 23, v92
	v_mul_u32_u24_e32 v88, 0x10e0, v102
	v_mul_lo_u16 v118, 0x10e, v86
	v_sub_nc_u16 v87, v83, v87
	v_mov_b32_e32 v80, 4
	v_add_co_ci_u32_e64 v217, s0, 0, v126, s0
	v_add_co_u32 v218, s0, 0x1040, v123
	v_add3_u32 v107, 0, v98, v120
	v_add3_u32 v112, 0, v110, v121
	ds_read_b128 v[120:123], v85 offset:25920
	v_mul_lo_u16 v117, 0x10e, v84
	v_mul_lo_u16 v89, 0x10e, v89
	v_sub_nc_u16 v97, v255, v118
	v_and_b32_e32 v92, 0xffff, v87
	v_add3_u32 v87, 0, v88, v100
	v_lshlrev_b32_sdwa v88, v80, v99 dst_sel:DWORD dst_unused:UNUSED_PAD src0_sel:DWORD src1_sel:BYTE_0
	buffer_store_dword v84, off, s[24:27], 0 offset:44 ; 4-byte Folded Spill
	v_sub_nc_u16 v109, v253, v117
	v_sub_nc_u16 v89, v82, v89
	v_and_b32_e32 v84, 0xffff, v97
	ds_read_b128 v[116:119], v85 offset:12960
	ds_read_b128 v[97:100], v85 offset:14256
	v_add_co_ci_u32_e64 v219, s0, 0, v126, s0
	v_add3_u32 v82, 0, v125, v111
	v_lshl_add_u32 v83, v128, 4, 0
	v_add3_u32 v80, 0, v124, v88
	ds_read_b128 v[124:127], v85 offset:27216
	ds_read_b128 v[128:131], v85 offset:15552
	;; [unrolled: 1-line block ×11, first 2 shown]
	s_waitcnt lgkmcnt(13)
	v_mul_f64 v[222:223], v[122:123], v[6:7]
	v_mul_f64 v[224:225], v[120:121], v[6:7]
	ds_read_b128 v[168:171], v85 offset:33696
	ds_read_b128 v[172:175], v85 offset:34992
	;; [unrolled: 1-line block ×6, first 2 shown]
	ds_read_b128 v[192:195], v85
	ds_read_b128 v[196:199], v85 offset:1296
	v_and_b32_e32 v86, 0xffff, v89
	v_lshlrev_b32_sdwa v102, v94, v109 dst_sel:DWORD dst_unused:UNUSED_PAD src0_sel:DWORD src1_sel:WORD_0
	v_add3_u32 v105, 0, v93, v105
	s_waitcnt lgkmcnt(20)
	v_mul_f64 v[220:221], v[118:119], v[10:11]
	s_waitcnt lgkmcnt(18)
	v_mul_f64 v[228:229], v[126:127], v[14:15]
	v_mul_f64 v[14:15], v[124:125], v[14:15]
	s_waitcnt lgkmcnt(17)
	v_mul_f64 v[230:231], v[130:131], v[18:19]
	;; [unrolled: 3-line block ×4, first 2 shown]
	v_mul_f64 v[42:43], v[140:141], v[42:43]
	v_mul_f64 v[10:11], v[116:117], v[10:11]
	;; [unrolled: 1-line block ×3, first 2 shown]
	v_fma_f64 v[222:223], v[120:121], v[4:5], v[222:223]
	v_fma_f64 v[4:5], v[122:123], v[4:5], -v[224:225]
	v_mul_f64 v[224:225], v[134:135], v[26:27]
	v_mul_f64 v[26:27], v[132:133], v[26:27]
	;; [unrolled: 1-line block ×3, first 2 shown]
	v_fma_f64 v[220:221], v[116:117], v[8:9], v[220:221]
	v_fma_f64 v[124:125], v[124:125], v[12:13], v[228:229]
	v_fma_f64 v[126:127], v[126:127], v[12:13], -v[14:15]
	v_fma_f64 v[128:129], v[128:129], v[16:17], v[230:231]
	v_fma_f64 v[130:131], v[130:131], v[16:17], -v[18:19]
	s_waitcnt lgkmcnt(13)
	v_mul_f64 v[14:15], v[146:147], v[74:75]
	v_mul_f64 v[16:17], v[144:145], v[74:75]
	s_waitcnt lgkmcnt(11)
	v_mul_f64 v[18:19], v[154:155], v[58:59]
	v_mul_f64 v[58:59], v[152:153], v[58:59]
	v_fma_f64 v[74:75], v[136:137], v[20:21], v[234:235]
	v_fma_f64 v[136:137], v[138:139], v[20:21], -v[22:23]
	v_mul_f64 v[20:21], v[150:151], v[62:63]
	v_mul_f64 v[22:23], v[148:149], v[62:63]
	s_waitcnt lgkmcnt(10)
	v_mul_f64 v[62:63], v[158:159], v[30:31]
	v_mul_f64 v[30:31], v[156:157], v[30:31]
	v_fma_f64 v[132:133], v[132:133], v[24:25], v[224:225]
	v_fma_f64 v[24:25], v[134:135], v[24:25], -v[26:27]
	s_waitcnt lgkmcnt(9)
	v_mul_f64 v[26:27], v[162:163], v[38:39]
	v_mul_f64 v[38:39], v[160:161], v[38:39]
	s_waitcnt lgkmcnt(7)
	v_mul_f64 v[134:135], v[170:171], v[34:35]
	v_mul_f64 v[34:35], v[168:169], v[34:35]
	v_fma_f64 v[138:139], v[140:141], v[40:41], v[238:239]
	v_fma_f64 v[40:41], v[142:143], v[40:41], -v[42:43]
	v_mul_f64 v[42:43], v[166:167], v[46:47]
	v_mul_f64 v[46:47], v[164:165], v[46:47]
	s_waitcnt lgkmcnt(6)
	v_mul_f64 v[140:141], v[174:175], v[66:67]
	v_mul_f64 v[66:67], v[172:173], v[66:67]
	v_fma_f64 v[232:233], v[118:119], v[8:9], -v[10:11]
	v_fma_f64 v[142:143], v[144:145], v[72:73], v[14:15]
	v_fma_f64 v[72:73], v[146:147], v[72:73], -v[16:17]
	s_waitcnt lgkmcnt(5)
	v_mul_f64 v[144:145], v[178:179], v[54:55]
	v_mul_f64 v[54:55], v[176:177], v[54:55]
	s_waitcnt lgkmcnt(3)
	v_mul_f64 v[146:147], v[186:187], v[50:51]
	v_mul_f64 v[50:51], v[184:185], v[50:51]
	v_fma_f64 v[152:153], v[152:153], v[56:57], v[18:19]
	v_fma_f64 v[56:57], v[154:155], v[56:57], -v[58:59]
	v_mul_f64 v[58:59], v[182:183], v[70:71]
	v_mul_f64 v[70:71], v[180:181], v[70:71]
	s_waitcnt lgkmcnt(2)
	v_mul_f64 v[154:155], v[190:191], v[78:79]
	v_mul_f64 v[78:79], v[188:189], v[78:79]
	v_fma_f64 v[226:227], v[97:98], v[0:1], v[226:227]
	v_fma_f64 v[236:237], v[99:100], v[0:1], -v[2:3]
	ds_read_b128 v[6:9], v85 offset:2592
	ds_read_b128 v[116:119], v85 offset:3888
	v_fma_f64 v[148:149], v[148:149], v[60:61], v[20:21]
	v_fma_f64 v[22:23], v[150:151], v[60:61], -v[22:23]
	v_fma_f64 v[60:61], v[156:157], v[28:29], v[62:63]
	v_fma_f64 v[62:63], v[158:159], v[28:29], -v[30:31]
	v_fma_f64 v[26:27], v[160:161], v[36:37], v[26:27]
	v_fma_f64 v[28:29], v[162:163], v[36:37], -v[38:39]
	v_fma_f64 v[38:39], v[168:169], v[32:33], v[134:135]
	v_fma_f64 v[134:135], v[170:171], v[32:33], -v[34:35]
	v_fma_f64 v[30:31], v[164:165], v[44:45], v[42:43]
	v_fma_f64 v[32:33], v[166:167], v[44:45], -v[46:47]
	v_fma_f64 v[42:43], v[172:173], v[64:65], v[140:141]
	v_fma_f64 v[44:45], v[174:175], v[64:65], -v[66:67]
	v_fma_f64 v[34:35], v[176:177], v[52:53], v[144:145]
	v_fma_f64 v[36:37], v[178:179], v[52:53], -v[54:55]
	v_fma_f64 v[46:47], v[184:185], v[48:49], v[146:147]
	v_fma_f64 v[48:49], v[186:187], v[48:49], -v[50:51]
	v_fma_f64 v[50:51], v[180:181], v[68:69], v[58:59]
	v_fma_f64 v[52:53], v[182:183], v[68:69], -v[70:71]
	v_fma_f64 v[54:55], v[188:189], v[76:77], v[154:155]
	v_fma_f64 v[58:59], v[190:191], v[76:77], -v[78:79]
	v_add_f64 v[64:65], v[220:221], v[222:223]
	v_add_f64 v[66:67], v[232:233], v[4:5]
	ds_read_b128 v[0:3], v85 offset:5184
	ds_read_b128 v[97:100], v85 offset:6480
	;; [unrolled: 1-line block ×4, first 2 shown]
	s_waitcnt lgkmcnt(7)
	v_add_f64 v[68:69], v[194:195], v[232:233]
	v_add_f64 v[70:71], v[192:193], v[220:221]
	;; [unrolled: 1-line block ×4, first 2 shown]
	ds_read_b128 v[14:17], v85 offset:10368
	ds_read_b128 v[18:21], v85 offset:11664
	s_waitcnt lgkmcnt(8)
	v_add_f64 v[144:145], v[196:197], v[226:227]
	v_add_f64 v[154:155], v[128:129], v[74:75]
	;; [unrolled: 1-line block ×3, first 2 shown]
	s_waitcnt lgkmcnt(7)
	v_add_f64 v[164:165], v[6:7], v[128:129]
	v_add_f64 v[166:167], v[132:133], v[138:139]
	;; [unrolled: 1-line block ×7, first 2 shown]
	s_waitcnt lgkmcnt(6)
	v_add_f64 v[172:173], v[116:117], v[132:133]
	v_add_f64 v[184:185], v[148:149], v[60:61]
	;; [unrolled: 1-line block ×3, first 2 shown]
	v_add_f64 v[150:151], v[220:221], -v[222:223]
	v_add_f64 v[220:221], v[26:27], v[38:39]
	v_add_f64 v[224:225], v[28:29], v[134:135]
	v_add_f64 v[160:161], v[226:227], -v[124:125]
	s_waitcnt lgkmcnt(5)
	v_add_f64 v[180:181], v[0:1], v[142:143]
	v_add_f64 v[226:227], v[30:31], v[42:43]
	;; [unrolled: 1-line block ×3, first 2 shown]
	v_add_f64 v[146:147], v[232:233], -v[4:5]
	v_add_f64 v[158:159], v[236:237], -v[126:127]
	v_add_f64 v[234:235], v[34:35], v[46:47]
	v_add_f64 v[236:237], v[36:37], v[48:49]
	s_waitcnt lgkmcnt(2)
	v_add_f64 v[240:241], v[122:123], v[32:33]
	v_add_f64 v[242:243], v[120:121], v[30:31]
	;; [unrolled: 1-line block ×3, first 2 shown]
	v_fma_f64 v[64:65], v[64:65], -0.5, v[192:193]
	v_fma_f64 v[66:67], v[66:67], -0.5, v[194:195]
	v_add_f64 v[192:193], v[52:53], v[58:59]
	s_waitcnt lgkmcnt(1)
	v_add_f64 v[244:245], v[16:17], v[36:37]
	v_add_f64 v[194:195], v[14:15], v[34:35]
	;; [unrolled: 1-line block ×3, first 2 shown]
	v_add_f64 v[182:183], v[24:25], -v[40:41]
	v_add_f64 v[188:189], v[99:100], v[22:23]
	v_add_f64 v[230:231], v[22:23], -v[62:63]
	v_add_f64 v[238:239], v[10:11], v[26:27]
	v_add_f64 v[24:25], v[68:69], v[4:5]
	;; [unrolled: 1-line block ×3, first 2 shown]
	s_waitcnt lgkmcnt(0)
	v_add_f64 v[68:69], v[20:21], v[52:53]
	v_add_f64 v[70:71], v[18:19], v[50:51]
	v_add_f64 v[88:89], v[52:53], -v[58:59]
	v_fma_f64 v[52:53], v[76:77], -0.5, v[196:197]
	v_fma_f64 v[76:77], v[78:79], -0.5, v[198:199]
	v_add_f64 v[178:179], v[2:3], v[72:73]
	v_add_f64 v[130:131], v[130:131], -v[136:137]
	v_add_f64 v[128:129], v[128:129], -v[74:75]
	;; [unrolled: 1-line block ×3, first 2 shown]
	v_add_f64 v[26:27], v[144:145], v[124:125]
	v_fma_f64 v[78:79], v[154:155], -0.5, v[6:7]
	v_fma_f64 v[124:125], v[156:157], -0.5, v[8:9]
	v_add_f64 v[190:191], v[97:98], v[148:149]
	v_add_f64 v[132:133], v[132:133], -v[138:139]
	v_add_f64 v[4:5], v[164:165], v[74:75]
	v_fma_f64 v[74:75], v[166:167], -0.5, v[116:117]
	v_fma_f64 v[116:117], v[168:169], -0.5, v[118:119]
	v_add_f64 v[72:73], v[72:73], -v[56:57]
	v_add_f64 v[142:143], v[142:143], -v[152:153]
	v_add_f64 v[232:233], v[12:13], v[28:29]
	v_add_f64 v[248:249], v[28:29], -v[134:135]
	v_add_f64 v[28:29], v[140:141], v[126:127]
	v_fma_f64 v[118:119], v[174:175], -0.5, v[0:1]
	v_fma_f64 v[126:127], v[176:177], -0.5, v[2:3]
	v_add_f64 v[148:149], v[148:149], -v[60:61]
	v_add_f64 v[252:253], v[30:31], -v[42:43]
	v_add_f64 v[6:7], v[162:163], v[136:137]
	v_add_f64 v[30:31], v[172:173], v[138:139]
	v_fma_f64 v[136:137], v[184:185], -0.5, v[97:98]
	v_fma_f64 v[138:139], v[186:187], -0.5, v[99:100]
	;; [unrolled: 1-line block ×4, first 2 shown]
	v_add_f64 v[222:223], v[32:33], -v[44:45]
	v_add_f64 v[0:1], v[180:181], v[152:153]
	v_fma_f64 v[152:153], v[226:227], -0.5, v[120:121]
	v_fma_f64 v[154:155], v[228:229], -0.5, v[122:123]
	v_add_f64 v[254:255], v[36:37], -v[48:49]
	v_add_f64 v[93:94], v[34:35], -v[46:47]
	;; [unrolled: 1-line block ×3, first 2 shown]
	v_fma_f64 v[156:157], v[234:235], -0.5, v[14:15]
	v_fma_f64 v[162:163], v[236:237], -0.5, v[16:17]
	;; [unrolled: 1-line block ×4, first 2 shown]
	v_add_f64 v[14:15], v[240:241], v[44:45]
	v_add_f64 v[12:13], v[242:243], v[42:43]
	v_fma_f64 v[42:43], v[146:147], s[4:5], v[64:65]
	v_fma_f64 v[44:45], v[150:151], s[6:7], v[66:67]
	v_add_f64 v[18:19], v[244:245], v[48:49]
	v_add_f64 v[16:17], v[194:195], v[46:47]
	v_fma_f64 v[46:47], v[146:147], s[6:7], v[64:65]
	v_fma_f64 v[48:49], v[150:151], s[4:5], v[66:67]
	;; [unrolled: 4-line block ×3, first 2 shown]
	v_fma_f64 v[52:53], v[160:161], s[6:7], v[76:77]
	v_add_f64 v[2:3], v[178:179], v[56:57]
	v_fma_f64 v[56:57], v[160:161], s[4:5], v[76:77]
	s_waitcnt_vscnt null, 0x0
	s_barrier
	buffer_gl0_inv
	ds_write_b128 v85, v[22:25]
	v_fma_f64 v[20:21], v[130:131], s[4:5], v[78:79]
	v_fma_f64 v[22:23], v[128:129], s[6:7], v[124:125]
	v_add_f64 v[32:33], v[170:171], v[40:41]
	v_add_f64 v[34:35], v[190:191], v[60:61]
	;; [unrolled: 1-line block ×3, first 2 shown]
	v_fma_f64 v[58:59], v[130:131], s[6:7], v[78:79]
	v_fma_f64 v[60:61], v[128:129], s[4:5], v[124:125]
	v_add_f64 v[36:37], v[188:189], v[62:63]
	v_fma_f64 v[62:63], v[182:183], s[4:5], v[74:75]
	v_fma_f64 v[64:65], v[132:133], s[6:7], v[116:117]
	;; [unrolled: 1-line block ×12, first 2 shown]
	v_add_f64 v[10:11], v[232:233], v[134:135]
	v_fma_f64 v[120:121], v[248:249], s[4:5], v[140:141]
	v_fma_f64 v[122:123], v[250:251], s[6:7], v[144:145]
	;; [unrolled: 1-line block ×16, first 2 shown]
	ds_write_b128 v85, v[42:45] offset:1440
	ds_write_b128 v85, v[46:49] offset:2880
	ds_write_b128 v101, v[26:29]
	ds_write_b128 v101, v[50:53] offset:1440
	ds_write_b128 v101, v[54:57] offset:2880
	ds_write_b128 v80, v[4:7]
	;; [unrolled: 3-line block ×8, first 2 shown]
	ds_write_b128 v82, v[136:139] offset:1440
	ds_write_b128 v82, v[140:143] offset:2880
	;; [unrolled: 1-line block ×5, first 2 shown]
	v_add_co_u32 v2, s0, s8, v102
	v_add_co_ci_u32_e64 v3, null, s9, 0, s0
	v_lshlrev_b32_e32 v0, 5, v84
	v_add_co_u32 v12, s0, 0x1000, v2
	v_add_co_ci_u32_e64 v13, s0, 0, v3, s0
	v_lshlrev_b32_e32 v1, 5, v86
	v_add_co_u32 v14, s0, 0x1040, v2
	v_lshlrev_b32_e32 v4, 5, v92
	v_add_co_ci_u32_e64 v15, s0, 0, v3, s0
	v_add_co_u32 v0, s0, s8, v0
	v_add_co_ci_u32_e64 v2, null, s9, 0, s0
	v_add_co_u32 v24, s0, s8, v1
	v_add_co_ci_u32_e64 v25, null, s9, 0, s0
	v_add_co_u32 v46, s0, s8, v4
	v_add_co_ci_u32_e64 v47, null, s9, 0, s0
	v_add_co_u32 v16, s0, 0x1000, v0
	v_add_co_ci_u32_e64 v17, s0, 0, v2, s0
	v_add_co_u32 v18, s0, 0x1040, v0
	v_add_co_ci_u32_e64 v19, s0, 0, v2, s0
	;; [unrolled: 2-line block ×6, first 2 shown]
	s_waitcnt lgkmcnt(0)
	s_barrier
	buffer_gl0_inv
	s_clause 0x13
	global_load_dwordx4 v[56:59], v[90:91], off offset:64
	global_load_dwordx4 v[64:67], v[113:114], off offset:64
	global_load_dwordx4 v[60:63], v[200:201], off offset:16
	global_load_dwordx4 v[76:79], v[202:203], off offset:16
	global_load_dwordx4 v[72:75], v[204:205], off offset:64
	global_load_dwordx4 v[48:51], v[206:207], off offset:16
	global_load_dwordx4 v[52:55], v[216:217], off offset:64
	global_load_dwordx4 v[28:31], v[218:219], off offset:16
	global_load_dwordx4 v[32:35], v[208:209], off offset:64
	global_load_dwordx4 v[4:7], v[210:211], off offset:16
	global_load_dwordx4 v[8:11], v[212:213], off offset:64
	global_load_dwordx4 v[0:3], v[214:215], off offset:16
	global_load_dwordx4 v[20:23], v[12:13], off offset:64
	global_load_dwordx4 v[242:245], v[14:15], off offset:16
	global_load_dwordx4 v[24:27], v[16:17], off offset:64
	global_load_dwordx4 v[16:19], v[18:19], off offset:16
	global_load_dwordx4 v[40:43], v[36:37], off offset:64
	global_load_dwordx4 v[36:39], v[38:39], off offset:16
	global_load_dwordx4 v[44:47], v[44:45], off offset:64
	global_load_dwordx4 v[68:71], v[68:69], off offset:16
	s_clause 0x1
	buffer_load_dword v12, off, s[24:27], 0 offset:20
	buffer_load_dword v13, off, s[24:27], 0 offset:24
	v_lshlrev_b32_e32 v97, 4, v115
	v_mov_b32_e32 v107, v86
	v_mov_b32_e32 v86, v92
	;; [unrolled: 1-line block ×3, first 2 shown]
	s_waitcnt vmcnt(1)
	v_cmp_lt_u32_e64 s0, 26, v12
	s_clause 0x2
	buffer_load_dword v14, off, s[24:27], 0 offset:4
	buffer_load_dword v15, off, s[24:27], 0 offset:8
	;; [unrolled: 1-line block ×3, first 2 shown]
	v_cndmask_b32_e64 v94, 0, 0x32a0, s0
	v_add_co_u32 v112, s0, 0x3000, v95
	v_add_co_ci_u32_e64 v113, s0, 0, v96, s0
	v_add_co_u32 v92, s0, 0x3200, v95
	v_add_co_ci_u32_e64 v93, s0, 0, v96, s0
	s_waitcnt vmcnt(0)
	v_lshlrev_b32_e32 v14, 1, v12
	v_add3_u32 v12, 0, v94, v97
	v_add_co_u32 v94, s0, 0x3000, v108
	v_add_co_ci_u32_e64 v95, s0, 0, v104, s0
	buffer_store_dword v12, off, s[24:27], 0 offset:48 ; 4-byte Folded Spill
	buffer_load_dword v12, off, s[24:27], 0 offset:44 ; 4-byte Folded Reload
	v_lshlrev_b64 v[88:89], 4, v[14:15]
	v_add_co_u32 v98, s0, 0x3200, v108
	v_add_co_ci_u32_e64 v99, s0, 0, v104, s0
	v_add_co_u32 v96, s0, 0x3000, v106
	v_add_co_ci_u32_e64 v97, s0, 0, v103, s0
	;; [unrolled: 2-line block ×6, first 2 shown]
	s_waitcnt vmcnt(0)
	v_mul_u32_u24_e32 v80, 0x32a0, v12
	buffer_load_dword v12, off, s[24:27], 0 offset:40 ; 4-byte Folded Reload
	s_waitcnt vmcnt(0)
	v_lshlrev_b32_e32 v14, 1, v12
	buffer_load_dword v12, off, s[24:27], 0 offset:36 ; 4-byte Folded Reload
	v_lshlrev_b64 v[90:91], 4, v[14:15]
	v_add_co_u32 v82, s0, s8, v90
	v_add_co_ci_u32_e64 v84, s0, s9, v91, s0
	v_add_co_u32 v106, s0, 0x3000, v82
	s_waitcnt vmcnt(0)
	v_lshlrev_b32_e32 v14, 1, v12
	v_mov_b32_e32 v12, 4
	v_lshlrev_b64 v[88:89], 4, v[14:15]
	v_lshlrev_b32_sdwa v83, v12, v109 dst_sel:DWORD dst_unused:UNUSED_PAD src0_sel:DWORD src1_sel:WORD_0
	buffer_load_dword v12, off, s[24:27], 0 offset:60 ; 4-byte Folded Reload
	v_add3_u32 v13, 0, v80, v83
	s_waitcnt vmcnt(0)
	v_lshlrev_b32_e32 v14, 1, v12
	v_lshl_add_u32 v12, v87, 4, 0
	v_lshlrev_b64 v[80:81], 4, v[14:15]
	buffer_store_dword v12, off, s[24:27], 0 offset:44 ; 4-byte Folded Spill
	v_lshl_add_u32 v12, v107, 4, 0
	v_add_co_ci_u32_e64 v107, s0, 0, v84, s0
	v_add_co_u32 v108, s0, 0x3200, v82
	buffer_store_dword v12, off, s[24:27], 0 offset:40 ; 4-byte Folded Spill
	v_lshl_add_u32 v12, v86, 4, 0
	v_add_co_ci_u32_e64 v109, s0, 0, v84, s0
	v_add_co_u32 v82, s0, s8, v88
	buffer_store_dword v12, off, s[24:27], 0 offset:36 ; 4-byte Folded Spill
	buffer_load_dword v12, off, s[24:27], 0 offset:16 ; 4-byte Folded Reload
	v_add_co_ci_u32_e64 v83, s0, s9, v89, s0
	v_add_co_u32 v218, s0, 0x3000, v82
	v_add_co_ci_u32_e64 v219, s0, 0, v83, s0
	v_add_co_u32 v220, s0, 0x3200, v82
	;; [unrolled: 2-line block ×5, first 2 shown]
	v_add_co_ci_u32_e64 v225, s0, 0, v81, s0
	s_waitcnt vmcnt(0)
	v_lshlrev_b32_e32 v14, 1, v12
	buffer_load_dword v12, off, s[24:27], 0 offset:12 ; 4-byte Folded Reload
	v_lshlrev_b64 v[88:89], 4, v[14:15]
	v_add_co_u32 v80, s0, s8, v88
	v_add_co_ci_u32_e64 v81, s0, s9, v89, s0
	v_add_co_u32 v226, s0, 0x3000, v80
	v_add_co_ci_u32_e64 v227, s0, 0, v81, s0
	v_add_co_u32 v228, s0, 0x3200, v80
	v_add_co_ci_u32_e64 v229, s0, 0, v81, s0
	s_waitcnt vmcnt(0)
	v_lshlrev_b32_e32 v14, 1, v12
	buffer_load_dword v12, off, s[24:27], 0 ; 4-byte Folded Reload
	v_lshlrev_b64 v[90:91], 4, v[14:15]
	s_waitcnt vmcnt(0)
	v_lshlrev_b32_e32 v14, 1, v12
	v_mov_b32_e32 v12, v15
	buffer_store_dword v11, off, s[24:27], 0 offset:4 ; 4-byte Folded Spill
	buffer_store_dword v12, off, s[24:27], 0 offset:8 ; 4-byte Folded Spill
	ds_read_b128 v[114:117], v85 offset:12960
	ds_read_b128 v[118:121], v85 offset:25920
	;; [unrolled: 1-line block ×14, first 2 shown]
	v_mov_b32_e32 v12, v85
	ds_read_b128 v[170:173], v12 offset:33696
	ds_read_b128 v[174:177], v12 offset:34992
	;; [unrolled: 1-line block ×6, first 2 shown]
	ds_read_b128 v[194:197], v12
	ds_read_b128 v[198:201], v12 offset:1296
	ds_read_b128 v[202:205], v12 offset:2592
	;; [unrolled: 1-line block ×3, first 2 shown]
	s_waitcnt lgkmcnt(21)
	v_mul_f64 v[232:233], v[124:125], v[66:67]
	s_waitcnt lgkmcnt(20)
	v_mul_f64 v[234:235], v[128:129], v[78:79]
	v_mul_f64 v[78:79], v[126:127], v[78:79]
	;; [unrolled: 1-line block ×3, first 2 shown]
	s_waitcnt lgkmcnt(19)
	v_mul_f64 v[236:237], v[132:133], v[74:75]
	v_mul_f64 v[74:75], v[130:131], v[74:75]
	s_waitcnt lgkmcnt(17)
	v_mul_f64 v[240:241], v[140:141], v[50:51]
	v_mul_f64 v[50:51], v[138:139], v[50:51]
	v_lshlrev_b64 v[88:89], 4, v[14:15]
	v_mul_f64 v[84:85], v[116:117], v[58:59]
	v_mul_f64 v[230:231], v[120:121], v[62:63]
	;; [unrolled: 1-line block ×4, first 2 shown]
	ds_read_b128 v[210:213], v12 offset:5184
	ds_read_b128 v[214:217], v12 offset:6480
	s_waitcnt lgkmcnt(11)
	v_mul_f64 v[14:15], v[170:171], v[244:245]
	v_fma_f64 v[122:123], v[122:123], v[64:65], v[232:233]
	v_mul_f64 v[232:233], v[144:145], v[30:31]
	v_mul_f64 v[30:31], v[142:143], v[30:31]
	v_fma_f64 v[126:127], v[126:127], v[76:77], v[234:235]
	v_fma_f64 v[76:77], v[128:129], v[76:77], -v[78:79]
	v_mul_f64 v[78:79], v[148:149], v[34:35]
	v_mul_f64 v[34:35], v[146:147], v[34:35]
	;; [unrolled: 1-line block ×4, first 2 shown]
	v_fma_f64 v[84:85], v[114:115], v[56:57], v[84:85]
	v_fma_f64 v[118:119], v[118:119], v[60:61], v[230:231]
	v_mul_f64 v[230:231], v[136:137], v[54:55]
	v_mul_f64 v[54:55], v[134:135], v[54:55]
	v_fma_f64 v[238:239], v[116:117], v[56:57], -v[58:59]
	v_fma_f64 v[120:121], v[120:121], v[60:61], -v[62:63]
	v_fma_f64 v[130:131], v[130:131], v[72:73], v[236:237]
	v_fma_f64 v[72:73], v[132:133], v[72:73], -v[74:75]
	v_mul_f64 v[132:133], v[160:161], v[2:3]
	v_fma_f64 v[138:139], v[138:139], v[48:49], v[240:241]
	v_fma_f64 v[48:49], v[140:141], v[48:49], -v[50:51]
	v_mul_f64 v[2:3], v[158:159], v[2:3]
	v_mul_f64 v[50:51], v[164:165], v[22:23]
	;; [unrolled: 1-line block ×3, first 2 shown]
	v_fma_f64 v[142:143], v[142:143], v[28:29], v[232:233]
	v_fma_f64 v[28:29], v[144:145], v[28:29], -v[30:31]
	s_waitcnt lgkmcnt(9)
	v_mul_f64 v[30:31], v[180:181], v[42:43]
	v_fma_f64 v[124:125], v[124:125], v[64:65], -v[66:67]
	v_mul_f64 v[140:141], v[172:173], v[244:245]
	s_waitcnt lgkmcnt(7)
	v_mul_f64 v[144:145], v[188:189], v[38:39]
	v_fma_f64 v[78:79], v[146:147], v[32:33], v[78:79]
	v_fma_f64 v[32:33], v[148:149], v[32:33], -v[34:35]
	v_mul_f64 v[34:35], v[186:187], v[38:39]
	v_mul_f64 v[38:39], v[184:185], v[46:47]
	v_fma_f64 v[134:135], v[134:135], v[52:53], v[230:231]
	v_fma_f64 v[52:53], v[136:137], v[52:53], -v[54:55]
	v_mul_f64 v[54:55], v[168:169], v[26:27]
	v_mul_f64 v[26:27], v[166:167], v[26:27]
	;; [unrolled: 1-line block ×6, first 2 shown]
	s_waitcnt lgkmcnt(6)
	v_mul_f64 v[146:147], v[192:193], v[70:71]
	v_fma_f64 v[128:129], v[154:155], v[4:5], v[128:129]
	v_fma_f64 v[148:149], v[156:157], v[4:5], -v[6:7]
	v_mul_f64 v[4:5], v[190:191], v[70:71]
	v_fma_f64 v[70:71], v[158:159], v[0:1], v[132:133]
	v_fma_f64 v[132:133], v[172:173], v[242:243], -v[14:15]
	v_fma_f64 v[14:15], v[178:179], v[40:41], v[30:31]
	v_add_f64 v[86:87], v[84:85], v[118:119]
	v_add_f64 v[30:31], v[122:123], v[126:127]
	ds_read_b128 v[56:59], v12 offset:7776
	ds_read_b128 v[114:117], v12 offset:9072
	;; [unrolled: 1-line block ×4, first 2 shown]
	s_waitcnt lgkmcnt(0)
	s_waitcnt_vscnt null, 0x0
	v_fma_f64 v[34:35], v[188:189], v[36:37], -v[34:35]
	s_barrier
	buffer_gl0_inv
	v_add_f64 v[154:155], v[52:53], v[28:29]
	v_add_f64 v[156:157], v[208:209], v[52:53]
	v_fma_f64 v[80:81], v[168:169], v[24:25], -v[26:27]
	v_add_f64 v[26:27], v[194:195], v[84:85]
	v_add_f64 v[158:159], v[206:207], v[134:135]
	v_add_f64 v[168:169], v[32:33], -v[148:149]
	v_add_f64 v[240:241], v[60:61], v[14:15]
	v_fma_f64 v[86:87], v[86:87], -0.5, v[194:195]
	v_add_f64 v[230:231], v[116:117], v[80:81]
	v_mul_f64 v[74:75], v[152:153], v[10:11]
	v_mul_f64 v[10:11], v[150:151], v[10:11]
	v_fma_f64 v[6:7], v[150:151], v[8:9], v[74:75]
	v_fma_f64 v[74:75], v[160:161], v[0:1], -v[2:3]
	v_fma_f64 v[2:3], v[164:165], v[20:21], -v[22:23]
	v_add_f64 v[22:23], v[238:239], v[120:121]
	v_fma_f64 v[8:9], v[152:153], v[8:9], -v[10:11]
	v_fma_f64 v[0:1], v[162:163], v[20:21], v[50:51]
	v_fma_f64 v[50:51], v[170:171], v[242:243], v[140:141]
	;; [unrolled: 1-line block ×4, first 2 shown]
	v_fma_f64 v[136:137], v[176:177], v[16:17], -v[18:19]
	v_fma_f64 v[18:19], v[182:183], v[44:45], v[38:39]
	v_fma_f64 v[20:21], v[184:185], v[44:45], -v[46:47]
	v_add_f64 v[24:25], v[196:197], v[238:239]
	v_add_f64 v[44:45], v[124:125], v[76:77]
	v_fma_f64 v[16:17], v[180:181], v[40:41], -v[42:43]
	v_fma_f64 v[40:41], v[186:187], v[36:37], v[144:145]
	v_fma_f64 v[36:37], v[190:191], v[68:69], v[146:147]
	v_fma_f64 v[38:39], v[192:193], v[68:69], -v[4:5]
	v_add_f64 v[68:69], v[200:201], v[124:125]
	v_add_f64 v[140:141], v[130:131], v[138:139]
	;; [unrolled: 1-line block ×3, first 2 shown]
	v_add_f64 v[42:43], v[238:239], -v[120:121]
	v_add_f64 v[46:47], v[84:85], -v[118:119]
	v_add_f64 v[162:163], v[32:33], v[148:149]
	v_add_f64 v[164:165], v[212:213], v[32:33]
	;; [unrolled: 1-line block ×4, first 2 shown]
	v_fma_f64 v[194:195], v[22:23], -0.5, v[196:197]
	v_add_f64 v[4:5], v[198:199], v[122:123]
	v_add_f64 v[124:125], v[124:125], -v[76:77]
	v_add_f64 v[122:123], v[122:123], -v[126:127]
	v_add_f64 v[146:147], v[204:205], v[72:73]
	v_add_f64 v[150:151], v[202:203], v[130:131]
	;; [unrolled: 1-line block ×6, first 2 shown]
	v_add_f64 v[192:193], v[2:3], -v[132:133]
	v_add_f64 v[250:251], v[0:1], -v[50:51]
	v_add_f64 v[2:3], v[24:25], v[120:121]
	v_add_f64 v[0:1], v[26:27], v[118:119]
	v_fma_f64 v[118:119], v[30:31], -0.5, v[198:199]
	v_fma_f64 v[120:121], v[44:45], -0.5, v[200:201]
	v_add_f64 v[160:161], v[52:53], -v[28:29]
	v_add_f64 v[52:53], v[78:79], v[128:129]
	v_add_f64 v[232:233], v[114:115], v[10:11]
	v_add_f64 v[72:73], v[72:73], -v[48:49]
	v_add_f64 v[130:131], v[130:131], -v[138:139]
	v_add_f64 v[174:175], v[214:215], v[6:7]
	v_add_f64 v[178:179], v[6:7], -v[70:71]
	v_add_f64 v[6:7], v[68:69], v[76:77]
	v_fma_f64 v[68:69], v[140:141], -0.5, v[202:203]
	v_fma_f64 v[76:77], v[144:145], -0.5, v[204:205]
	v_add_f64 v[234:235], v[14:15], v[40:41]
	v_add_f64 v[236:237], v[16:17], v[34:35]
	v_add_f64 v[78:79], v[78:79], -v[128:129]
	v_add_f64 v[186:187], v[80:81], v[136:137]
	v_add_f64 v[238:239], v[62:63], v[16:17]
	v_add_f64 v[252:253], v[80:81], -v[136:137]
	v_add_f64 v[110:111], v[16:17], -v[34:35]
	v_add_f64 v[80:81], v[14:15], -v[40:41]
	v_add_f64 v[16:17], v[166:167], v[128:129]
	v_fma_f64 v[128:129], v[32:33], -0.5, v[214:215]
	v_add_f64 v[32:33], v[240:241], v[40:41]
	v_fma_f64 v[40:41], v[42:43], s[4:5], v[86:87]
	v_fma_f64 v[44:45], v[42:43], s[6:7], v[86:87]
	;; [unrolled: 1-line block ×3, first 2 shown]
	v_add_f64 v[4:5], v[4:5], v[126:127]
	v_fma_f64 v[46:47], v[46:47], s[4:5], v[194:195]
	v_add_f64 v[170:171], v[8:9], v[74:75]
	v_add_f64 v[172:173], v[216:217], v[8:9]
	v_add_f64 v[176:177], v[8:9], -v[74:75]
	v_add_f64 v[184:185], v[10:11], v[54:55]
	v_add_f64 v[254:255], v[10:11], -v[54:55]
	v_add_f64 v[10:11], v[146:147], v[48:49]
	v_add_f64 v[8:9], v[150:151], v[138:139]
	v_add_f64 v[24:25], v[190:191], v[50:51]
	v_fma_f64 v[48:49], v[124:125], s[4:5], v[118:119]
	v_fma_f64 v[50:51], v[122:123], s[6:7], v[120:121]
	v_add_f64 v[198:199], v[156:157], v[28:29]
	v_fma_f64 v[140:141], v[52:53], -0.5, v[210:211]
	v_add_f64 v[28:29], v[232:233], v[54:55]
	v_fma_f64 v[52:53], v[124:125], s[6:7], v[118:119]
	v_fma_f64 v[54:55], v[122:123], s[4:5], v[120:121]
	v_add_f64 v[242:243], v[18:19], v[36:37]
	v_add_f64 v[248:249], v[64:65], v[18:19]
	v_add_f64 v[84:85], v[18:19], -v[36:37]
	v_add_f64 v[18:19], v[164:165], v[148:149]
	v_fma_f64 v[146:147], v[180:181], -0.5, v[56:57]
	v_fma_f64 v[148:149], v[182:183], -0.5, v[58:59]
	v_fma_f64 v[56:57], v[72:73], s[4:5], v[68:69]
	v_fma_f64 v[58:59], v[130:131], s[6:7], v[76:77]
	v_add_f64 v[26:27], v[188:189], v[132:133]
	v_add_f64 v[30:31], v[230:231], v[136:137]
	v_fma_f64 v[132:133], v[234:235], -0.5, v[60:61]
	v_fma_f64 v[136:137], v[236:237], -0.5, v[62:63]
	v_fma_f64 v[60:61], v[72:73], s[6:7], v[68:69]
	v_fma_f64 v[62:63], v[130:131], s[4:5], v[76:77]
	ds_write_b128 v12, v[0:3]
	ds_write_b128 v12, v[4:7] offset:1296
	ds_write_b128 v12, v[8:11] offset:2592
	;; [unrolled: 1-line block ×8, first 2 shown]
	buffer_load_dword v14, off, s[24:27], 0 offset:48 ; 4-byte Folded Reload
	v_add_f64 v[152:153], v[134:135], v[142:143]
	v_add_f64 v[134:135], v[134:135], -v[142:143]
	v_add_f64 v[244:245], v[20:21], v[38:39]
	v_fma_f64 v[138:139], v[154:155], -0.5, v[208:209]
	v_add_f64 v[196:197], v[158:159], v[142:143]
	v_fma_f64 v[142:143], v[162:163], -0.5, v[212:213]
	v_fma_f64 v[144:145], v[170:171], -0.5, v[216:217]
	v_add_f64 v[246:247], v[66:67], v[20:21]
	v_fma_f64 v[154:155], v[242:243], -0.5, v[64:65]
	v_add_f64 v[82:83], v[20:21], -v[38:39]
	v_add_f64 v[20:21], v[174:175], v[70:71]
	v_fma_f64 v[0:1], v[168:169], s[4:5], v[140:141]
	v_fma_f64 v[4:5], v[168:169], s[6:7], v[140:141]
	v_add_f64 v[22:23], v[172:173], v[74:75]
	v_fma_f64 v[8:9], v[176:177], s[4:5], v[128:129]
	v_fma_f64 v[72:73], v[176:177], s[6:7], v[128:129]
	;; [unrolled: 1-line block ×3, first 2 shown]
	v_fma_f64 v[150:151], v[184:185], -0.5, v[114:115]
	v_fma_f64 v[114:115], v[192:193], s[6:7], v[146:147]
	v_add_f64 v[34:35], v[238:239], v[34:35]
	v_fma_f64 v[128:129], v[80:81], s[6:7], v[136:137]
	v_fma_f64 v[130:131], v[110:111], s[6:7], v[132:133]
	v_fma_f64 v[126:127], v[152:153], -0.5, v[206:207]
	v_fma_f64 v[152:153], v[186:187], -0.5, v[116:117]
	;; [unrolled: 1-line block ×3, first 2 shown]
	v_fma_f64 v[66:67], v[134:135], s[6:7], v[138:139]
	v_fma_f64 v[70:71], v[134:135], s[4:5], v[138:139]
	;; [unrolled: 1-line block ×8, first 2 shown]
	v_add_f64 v[38:39], v[246:247], v[38:39]
	v_add_f64 v[36:37], v[248:249], v[36:37]
	v_fma_f64 v[134:135], v[82:83], s[4:5], v[154:155]
	v_fma_f64 v[138:139], v[82:83], s[6:7], v[154:155]
	;; [unrolled: 1-line block ×6, first 2 shown]
	s_waitcnt vmcnt(0)
	ds_write_b128 v14, v[196:199]
	ds_write_b128 v14, v[64:67] offset:4320
	ds_write_b128 v14, v[68:71] offset:8640
	;; [unrolled: 1-line block ×8, first 2 shown]
	ds_write_b128 v13, v[24:27]
	ds_write_b128 v13, v[76:79] offset:4320
	ds_write_b128 v13, v[114:117] offset:8640
	buffer_load_dword v13, off, s[24:27], 0 offset:44 ; 4-byte Folded Reload
	v_fma_f64 v[120:121], v[254:255], s[6:7], v[152:153]
	v_fma_f64 v[124:125], v[254:255], s[4:5], v[152:153]
	s_waitcnt vmcnt(0)
	ds_write_b128 v13, v[28:31] offset:25920
	ds_write_b128 v13, v[118:121] offset:30240
	;; [unrolled: 1-line block ×3, first 2 shown]
	buffer_load_dword v13, off, s[24:27], 0 offset:40 ; 4-byte Folded Reload
	v_fma_f64 v[126:127], v[110:111], s[4:5], v[132:133]
	v_fma_f64 v[132:133], v[80:81], s[4:5], v[136:137]
	s_waitcnt vmcnt(0)
	ds_write_b128 v13, v[32:35] offset:25920
	ds_write_b128 v13, v[126:129] offset:30240
	;; [unrolled: 1-line block ×3, first 2 shown]
	buffer_load_dword v13, off, s[24:27], 0 offset:36 ; 4-byte Folded Reload
	v_fma_f64 v[136:137], v[84:85], s[6:7], v[156:157]
	v_fma_f64 v[140:141], v[84:85], s[4:5], v[156:157]
	v_add_co_u32 v20, s0, s8, v90
	v_add_co_ci_u32_e64 v21, s0, s9, v91, s0
	s_waitcnt vmcnt(0)
	ds_write_b128 v13, v[36:39] offset:25920
	ds_write_b128 v13, v[134:137] offset:30240
	;; [unrolled: 1-line block ×3, first 2 shown]
	s_waitcnt lgkmcnt(0)
	s_barrier
	buffer_gl0_inv
	s_clause 0x3
	global_load_dwordx4 v[84:87], v[112:113], off offset:512
	global_load_dwordx4 v[80:83], v[92:93], off offset:16
	;; [unrolled: 1-line block ×4, first 2 shown]
	v_add_co_u32 v24, s0, 0x3000, v20
	s_clause 0x3
	global_load_dwordx4 v[28:31], v[96:97], off offset:512
	global_load_dwordx4 v[8:11], v[100:101], off offset:16
	;; [unrolled: 1-line block ×4, first 2 shown]
	v_add_co_ci_u32_e64 v25, s0, 0, v21, s0
	v_add_co_u32 v26, s0, 0x3200, v20
	v_add_co_ci_u32_e64 v27, s0, 0, v21, s0
	v_add_co_u32 v50, s0, s8, v88
	v_add_co_ci_u32_e64 v51, s0, s9, v89, s0
	s_clause 0x3
	global_load_dwordx4 v[44:47], v[106:107], off offset:512
	global_load_dwordx4 v[32:35], v[108:109], off offset:16
	;; [unrolled: 1-line block ×4, first 2 shown]
	v_add_co_u32 v48, s0, 0x3000, v50
	v_add_co_ci_u32_e64 v49, s0, 0, v51, s0
	s_clause 0x5
	global_load_dwordx4 v[36:39], v[222:223], off offset:512
	global_load_dwordx4 v[20:23], v[224:225], off offset:16
	global_load_dwordx4 v[40:43], v[226:227], off offset:512
	global_load_dwordx4 v[56:59], v[228:229], off offset:16
	global_load_dwordx4 v[60:63], v[24:25], off offset:512
	global_load_dwordx4 v[64:67], v[26:27], off offset:16
	v_add_co_u32 v24, s0, 0x3200, v50
	v_add_co_ci_u32_e64 v25, s0, 0, v51, s0
	s_clause 0x1
	global_load_dwordx4 v[72:75], v[48:49], off offset:512
	global_load_dwordx4 v[76:79], v[24:25], off offset:16
	ds_read_b128 v[94:97], v12 offset:12960
	ds_read_b128 v[98:101], v12 offset:14256
	;; [unrolled: 1-line block ×20, first 2 shown]
	ds_read_b128 v[24:27], v12
	ds_read_b128 v[48:51], v12 offset:1296
	ds_read_b128 v[175:178], v12 offset:2592
	;; [unrolled: 1-line block ×9, first 2 shown]
	s_waitcnt vmcnt(0) lgkmcnt(0)
	s_barrier
	buffer_gl0_inv
	v_mul_f64 v[88:89], v[96:97], v[86:87]
	v_mul_f64 v[86:87], v[94:95], v[86:87]
	;; [unrolled: 1-line block ×24, first 2 shown]
	v_fma_f64 v[88:89], v[94:95], v[84:85], v[88:89]
	v_fma_f64 v[84:85], v[96:97], v[84:85], -v[86:87]
	v_mul_f64 v[86:87], v[145:146], v[38:39]
	v_mul_f64 v[38:39], v[143:144], v[38:39]
	v_mul_f64 v[94:95], v[153:154], v[22:23]
	v_fma_f64 v[90:91], v[102:103], v[80:81], v[90:91]
	v_fma_f64 v[80:81], v[104:105], v[80:81], -v[82:83]
	v_mul_f64 v[22:23], v[151:152], v[22:23]
	v_mul_f64 v[82:83], v[149:150], v[42:43]
	v_mul_f64 v[42:43], v[147:148], v[42:43]
	v_mul_f64 v[96:97], v[157:158], v[58:59]
	v_fma_f64 v[92:93], v[98:99], v[68:69], v[92:93]
	v_fma_f64 v[68:69], v[100:101], v[68:69], -v[70:71]
	v_mul_f64 v[58:59], v[155:156], v[58:59]
	;; [unrolled: 6-line block ×4, first 2 shown]
	v_fma_f64 v[78:79], v[119:120], v[8:9], v[211:212]
	v_fma_f64 v[8:9], v[121:122], v[8:9], -v[10:11]
	v_fma_f64 v[10:11], v[115:116], v[4:5], v[213:214]
	v_fma_f64 v[4:5], v[117:118], v[4:5], -v[6:7]
	;; [unrolled: 2-line block ×15, first 2 shown]
	v_add_f64 v[30:31], v[88:89], v[90:91]
	v_add_f64 v[70:71], v[84:85], v[80:81]
	;; [unrolled: 1-line block ×3, first 2 shown]
	v_add_f64 v[76:77], v[84:85], -v[80:81]
	v_add_f64 v[84:85], v[92:93], v[100:101]
	v_add_f64 v[86:87], v[68:69], v[52:53]
	;; [unrolled: 1-line block ×7, first 2 shown]
	v_add_f64 v[112:113], v[28:29], -v[8:9]
	v_add_f64 v[28:29], v[10:11], v[106:107]
	v_add_f64 v[114:115], v[4:5], v[108:109]
	v_add_f64 v[82:83], v[88:89], -v[90:91]
	v_add_f64 v[88:89], v[50:51], v[68:69]
	v_add_f64 v[124:125], v[0:1], v[44:45]
	v_add_f64 v[126:127], v[2:3], v[32:33]
	v_add_f64 v[94:95], v[48:49], v[92:93]
	v_add_f64 v[136:137], v[6:7], v[34:35]
	v_add_f64 v[138:139], v[16:17], v[46:47]
	v_add_f64 v[116:117], v[181:182], v[4:5]
	v_add_f64 v[118:119], v[179:180], v[10:11]
	v_add_f64 v[148:149], v[207:208], v[36:37]
	v_add_f64 v[150:151], v[14:15], v[38:39]
	v_add_f64 v[154:155], v[191:192], v[207:208]
	v_add_f64 v[158:159], v[207:208], -v[36:37]
	v_add_f64 v[160:161], v[18:19], v[40:41]
	v_add_f64 v[162:163], v[20:21], v[42:43]
	v_add_f64 v[172:173], v[22:23], v[58:59]
	v_add_f64 v[207:208], v[56:57], v[54:55]
	v_add_f64 v[209:210], v[201:202], v[56:57]
	v_add_f64 v[213:214], v[56:57], -v[54:55]
	v_add_f64 v[56:57], v[60:61], v[64:65]
	v_add_f64 v[217:218], v[62:63], v[66:67]
	;; [unrolled: 1-line block ×12, first 2 shown]
	v_add_f64 v[223:224], v[62:63], -v[66:67]
	v_add_f64 v[225:226], v[60:61], -v[64:65]
	v_fma_f64 v[60:61], v[30:31], -0.5, v[24:25]
	v_fma_f64 v[62:63], v[70:71], -0.5, v[26:27]
	v_add_f64 v[68:69], v[68:69], -v[52:53]
	v_add_f64 v[92:93], v[92:93], -v[100:101]
	;; [unrolled: 1-line block ×3, first 2 shown]
	v_add_f64 v[2:3], v[72:73], v[80:81]
	v_fma_f64 v[70:71], v[84:85], -0.5, v[48:49]
	v_fma_f64 v[72:73], v[86:87], -0.5, v[50:51]
	v_add_f64 v[104:105], v[104:105], -v[78:79]
	v_add_f64 v[134:135], v[0:1], -v[44:45]
	v_add_f64 v[0:1], v[74:75], v[90:91]
	v_fma_f64 v[74:75], v[96:97], -0.5, v[175:176]
	v_fma_f64 v[80:81], v[98:99], -0.5, v[177:178]
	v_add_f64 v[120:121], v[4:5], -v[108:109]
	v_add_f64 v[122:123], v[10:11], -v[106:107]
	v_add_f64 v[10:11], v[102:103], v[8:9]
	v_add_f64 v[8:9], v[110:111], v[78:79]
	v_fma_f64 v[78:79], v[28:29], -0.5, v[179:180]
	v_fma_f64 v[84:85], v[114:115], -0.5, v[181:182]
	v_add_f64 v[146:147], v[6:7], -v[34:35]
	v_add_f64 v[6:7], v[88:89], v[52:53]
	v_fma_f64 v[86:87], v[124:125], -0.5, v[183:184]
	v_fma_f64 v[88:89], v[126:127], -0.5, v[185:186]
	v_add_f64 v[144:145], v[16:17], -v[46:47]
	v_add_f64 v[4:5], v[94:95], v[100:101]
	v_fma_f64 v[90:91], v[136:137], -0.5, v[187:188]
	v_fma_f64 v[94:95], v[138:139], -0.5, v[189:190]
	v_add_f64 v[156:157], v[14:15], -v[38:39]
	v_add_f64 v[168:169], v[20:21], -v[42:43]
	v_add_f64 v[170:171], v[18:19], -v[40:41]
	;; [unrolled: 1-line block ×3, first 2 shown]
	v_add_f64 v[176:177], v[116:117], v[108:109]
	v_add_f64 v[174:175], v[118:119], v[106:107]
	v_fma_f64 v[96:97], v[148:149], -0.5, v[191:192]
	v_fma_f64 v[100:101], v[150:151], -0.5, v[193:194]
	v_fma_f64 v[106:107], v[160:161], -0.5, v[195:196]
	v_fma_f64 v[108:109], v[162:163], -0.5, v[197:198]
	v_fma_f64 v[114:115], v[172:173], -0.5, v[199:200]
	v_fma_f64 v[117:118], v[207:208], -0.5, v[201:202]
	v_fma_f64 v[124:125], v[56:57], -0.5, v[203:204]
	v_fma_f64 v[126:127], v[217:218], -0.5, v[205:206]
	v_add_f64 v[18:19], v[128:129], v[32:33]
	v_add_f64 v[16:17], v[130:131], v[44:45]
	;; [unrolled: 1-line block ×12, first 2 shown]
	v_fma_f64 v[40:41], v[76:77], s[4:5], v[60:61]
	v_fma_f64 v[42:43], v[82:83], s[6:7], v[62:63]
	;; [unrolled: 1-line block ×40, first 2 shown]
	ds_write_b128 v12, v[0:3]
	ds_write_b128 v12, v[4:7] offset:1296
	ds_write_b128 v12, v[8:11] offset:2592
	;; [unrolled: 1-line block ×29, first 2 shown]
	s_waitcnt lgkmcnt(0)
	s_barrier
	buffer_gl0_inv
	s_and_saveexec_b32 s0, vcc_lo
	s_cbranch_execz .LBB0_19
; %bb.18:
	s_clause 0x3
	buffer_load_dword v0, off, s[24:27], 0 offset:20
	buffer_load_dword v1, off, s[24:27], 0 offset:24
	;; [unrolled: 1-line block ×4, first 2 shown]
	s_waitcnt vmcnt(3)
	v_mov_b32_e32 v28, v0
	s_waitcnt vmcnt(0)
	v_mov_b32_e32 v29, v33
	v_lshl_add_u32 v26, v28, 4, 0
	v_add_nc_u32_e32 v32, 0x51, v28
	v_lshlrev_b64 v[18:19], 4, v[28:29]
	ds_read_b128 v[0:3], v26
	s_clause 0x1
	buffer_load_dword v4, off, s[24:27], 0 offset:28
	buffer_load_dword v5, off, s[24:27], 0 offset:32
	v_lshlrev_b64 v[16:17], 4, v[32:33]
	v_add_nc_u32_e32 v32, 0xa2, v28
	v_lshlrev_b64 v[20:21], 4, v[32:33]
	v_add_nc_u32_e32 v32, 0xf3, v28
	;; [unrolled: 2-line block ×3, first 2 shown]
	s_waitcnt vmcnt(1)
	v_add_co_u32 v30, vcc_lo, s2, v4
	s_waitcnt vmcnt(0)
	v_add_co_ci_u32_e32 v31, vcc_lo, s3, v5, vcc_lo
	ds_read_b128 v[4:7], v26 offset:1296
	ds_read_b128 v[8:11], v26 offset:2592
	ds_read_b128 v[12:15], v26 offset:3888
	v_add_co_u32 v18, vcc_lo, v30, v18
	v_add_co_ci_u32_e32 v19, vcc_lo, v31, v19, vcc_lo
	v_add_co_u32 v16, vcc_lo, v30, v16
	v_add_co_ci_u32_e32 v17, vcc_lo, v31, v17, vcc_lo
	s_waitcnt lgkmcnt(3)
	global_store_dwordx4 v[18:19], v[0:3], off
	v_add_co_u32 v0, vcc_lo, v30, v20
	v_add_co_ci_u32_e32 v1, vcc_lo, v31, v21, vcc_lo
	v_add_co_u32 v2, vcc_lo, v30, v22
	v_add_co_ci_u32_e32 v3, vcc_lo, v31, v23, vcc_lo
	s_waitcnt lgkmcnt(2)
	global_store_dwordx4 v[16:17], v[4:7], off
	v_lshlrev_b64 v[16:17], 4, v[32:33]
	v_add_nc_u32_e32 v32, 0x195, v28
	s_waitcnt lgkmcnt(1)
	global_store_dwordx4 v[0:1], v[8:11], off
	s_waitcnt lgkmcnt(0)
	global_store_dwordx4 v[2:3], v[12:15], off
	ds_read_b128 v[0:3], v26 offset:5184
	ds_read_b128 v[4:7], v26 offset:6480
	;; [unrolled: 1-line block ×3, first 2 shown]
	v_lshlrev_b64 v[12:13], 4, v[32:33]
	v_add_nc_u32_e32 v32, 0x1e6, v28
	v_add_co_u32 v14, vcc_lo, v30, v16
	v_add_co_ci_u32_e32 v15, vcc_lo, v31, v17, vcc_lo
	v_lshlrev_b64 v[16:17], 4, v[32:33]
	v_add_co_u32 v12, vcc_lo, v30, v12
	v_add_co_ci_u32_e32 v13, vcc_lo, v31, v13, vcc_lo
	v_add_nc_u32_e32 v32, 0x237, v28
	v_add_co_u32 v16, vcc_lo, v30, v16
	v_add_co_ci_u32_e32 v17, vcc_lo, v31, v17, vcc_lo
	v_lshlrev_b64 v[18:19], 4, v[32:33]
	v_add_nc_u32_e32 v32, 0x288, v28
	s_waitcnt lgkmcnt(2)
	global_store_dwordx4 v[14:15], v[0:3], off
	s_waitcnt lgkmcnt(1)
	global_store_dwordx4 v[12:13], v[4:7], off
	s_waitcnt lgkmcnt(0)
	global_store_dwordx4 v[16:17], v[8:11], off
	ds_read_b128 v[0:3], v26 offset:9072
	ds_read_b128 v[4:7], v26 offset:10368
	;; [unrolled: 1-line block ×3, first 2 shown]
	v_lshlrev_b64 v[12:13], 4, v[32:33]
	v_add_nc_u32_e32 v32, 0x2d9, v28
	v_add_co_u32 v14, vcc_lo, v30, v18
	v_add_co_ci_u32_e32 v15, vcc_lo, v31, v19, vcc_lo
	v_lshlrev_b64 v[16:17], 4, v[32:33]
	v_add_co_u32 v12, vcc_lo, v30, v12
	v_add_co_ci_u32_e32 v13, vcc_lo, v31, v13, vcc_lo
	v_add_nc_u32_e32 v32, 0x32a, v28
	v_add_co_u32 v16, vcc_lo, v30, v16
	v_add_co_ci_u32_e32 v17, vcc_lo, v31, v17, vcc_lo
	s_waitcnt lgkmcnt(2)
	global_store_dwordx4 v[14:15], v[0:3], off
	v_lshlrev_b64 v[14:15], 4, v[32:33]
	v_add_nc_u32_e32 v32, 0x37b, v28
	s_waitcnt lgkmcnt(1)
	global_store_dwordx4 v[12:13], v[4:7], off
	s_waitcnt lgkmcnt(0)
	global_store_dwordx4 v[16:17], v[8:11], off
	ds_read_b128 v[0:3], v26 offset:12960
	ds_read_b128 v[4:7], v26 offset:14256
	;; [unrolled: 1-line block ×3, first 2 shown]
	v_lshlrev_b64 v[12:13], 4, v[32:33]
	v_add_nc_u32_e32 v32, 0x3cc, v28
	v_add_co_u32 v14, vcc_lo, v30, v14
	v_add_co_ci_u32_e32 v15, vcc_lo, v31, v15, vcc_lo
	v_lshlrev_b64 v[16:17], 4, v[32:33]
	v_add_co_u32 v12, vcc_lo, v30, v12
	v_add_co_ci_u32_e32 v13, vcc_lo, v31, v13, vcc_lo
	v_add_nc_u32_e32 v32, 0x41d, v28
	v_add_co_u32 v16, vcc_lo, v30, v16
	v_add_co_ci_u32_e32 v17, vcc_lo, v31, v17, vcc_lo
	s_waitcnt lgkmcnt(2)
	global_store_dwordx4 v[14:15], v[0:3], off
	s_waitcnt lgkmcnt(1)
	global_store_dwordx4 v[12:13], v[4:7], off
	v_lshlrev_b64 v[18:19], 4, v[32:33]
	v_add_nc_u32_e32 v32, 0x46e, v28
	ds_read_b128 v[0:3], v26 offset:16848
	s_waitcnt lgkmcnt(1)
	global_store_dwordx4 v[16:17], v[8:11], off
	ds_read_b128 v[4:7], v26 offset:18144
	ds_read_b128 v[8:11], v26 offset:19440
	v_lshlrev_b64 v[12:13], 4, v[32:33]
	v_add_nc_u32_e32 v32, 0x4bf, v28
	v_add_co_u32 v14, vcc_lo, v30, v18
	v_add_co_ci_u32_e32 v15, vcc_lo, v31, v19, vcc_lo
	v_lshlrev_b64 v[16:17], 4, v[32:33]
	v_add_co_u32 v12, vcc_lo, v30, v12
	v_add_co_ci_u32_e32 v13, vcc_lo, v31, v13, vcc_lo
	v_add_nc_u32_e32 v32, 0x510, v28
	v_add_co_u32 v16, vcc_lo, v30, v16
	v_add_co_ci_u32_e32 v17, vcc_lo, v31, v17, vcc_lo
	s_waitcnt lgkmcnt(2)
	global_store_dwordx4 v[14:15], v[0:3], off
	v_lshlrev_b64 v[14:15], 4, v[32:33]
	v_add_nc_u32_e32 v32, 0x561, v28
	s_waitcnt lgkmcnt(1)
	global_store_dwordx4 v[12:13], v[4:7], off
	s_waitcnt lgkmcnt(0)
	global_store_dwordx4 v[16:17], v[8:11], off
	ds_read_b128 v[0:3], v26 offset:20736
	ds_read_b128 v[4:7], v26 offset:22032
	ds_read_b128 v[8:11], v26 offset:23328
	v_lshlrev_b64 v[12:13], 4, v[32:33]
	v_add_nc_u32_e32 v32, 0x5b2, v28
	v_add_co_u32 v14, vcc_lo, v30, v14
	v_add_co_ci_u32_e32 v15, vcc_lo, v31, v15, vcc_lo
	v_lshlrev_b64 v[16:17], 4, v[32:33]
	v_add_co_u32 v12, vcc_lo, v30, v12
	v_add_co_ci_u32_e32 v13, vcc_lo, v31, v13, vcc_lo
	v_add_nc_u32_e32 v32, 0x603, v28
	v_add_co_u32 v16, vcc_lo, v30, v16
	v_add_co_ci_u32_e32 v17, vcc_lo, v31, v17, vcc_lo
	v_lshlrev_b64 v[18:19], 4, v[32:33]
	v_add_nc_u32_e32 v32, 0x654, v28
	s_waitcnt lgkmcnt(2)
	global_store_dwordx4 v[14:15], v[0:3], off
	s_waitcnt lgkmcnt(1)
	global_store_dwordx4 v[12:13], v[4:7], off
	;; [unrolled: 2-line block ×3, first 2 shown]
	ds_read_b128 v[0:3], v26 offset:24624
	ds_read_b128 v[4:7], v26 offset:25920
	ds_read_b128 v[8:11], v26 offset:27216
	v_lshlrev_b64 v[12:13], 4, v[32:33]
	v_add_nc_u32_e32 v32, 0x6a5, v28
	v_add_co_u32 v14, vcc_lo, v30, v18
	v_add_co_ci_u32_e32 v15, vcc_lo, v31, v19, vcc_lo
	v_lshlrev_b64 v[16:17], 4, v[32:33]
	v_add_co_u32 v12, vcc_lo, v30, v12
	v_add_co_ci_u32_e32 v13, vcc_lo, v31, v13, vcc_lo
	v_add_nc_u32_e32 v32, 0x6f6, v28
	v_add_co_u32 v16, vcc_lo, v30, v16
	v_add_co_ci_u32_e32 v17, vcc_lo, v31, v17, vcc_lo
	s_waitcnt lgkmcnt(2)
	global_store_dwordx4 v[14:15], v[0:3], off
	s_waitcnt lgkmcnt(1)
	global_store_dwordx4 v[12:13], v[4:7], off
	;; [unrolled: 2-line block ×3, first 2 shown]
	v_lshlrev_b64 v[14:15], 4, v[32:33]
	v_add_nc_u32_e32 v32, 0x747, v28
	ds_read_b128 v[0:3], v26 offset:28512
	ds_read_b128 v[4:7], v26 offset:29808
	;; [unrolled: 1-line block ×3, first 2 shown]
	v_lshlrev_b64 v[12:13], 4, v[32:33]
	v_add_nc_u32_e32 v32, 0x798, v28
	v_add_co_u32 v14, vcc_lo, v30, v14
	v_add_co_ci_u32_e32 v15, vcc_lo, v31, v15, vcc_lo
	v_lshlrev_b64 v[16:17], 4, v[32:33]
	v_add_nc_u32_e32 v32, 0x7e9, v28
	v_add_co_u32 v12, vcc_lo, v30, v12
	v_add_co_ci_u32_e32 v13, vcc_lo, v31, v13, vcc_lo
	v_lshlrev_b64 v[18:19], 4, v[32:33]
	v_add_nc_u32_e32 v32, 0x83a, v28
	v_add_co_u32 v16, vcc_lo, v30, v16
	s_waitcnt lgkmcnt(2)
	global_store_dwordx4 v[14:15], v[0:3], off
	s_waitcnt lgkmcnt(1)
	global_store_dwordx4 v[12:13], v[4:7], off
	v_add_co_ci_u32_e32 v17, vcc_lo, v31, v17, vcc_lo
	v_lshlrev_b64 v[4:5], 4, v[32:33]
	v_add_co_u32 v20, vcc_lo, v30, v18
	v_add_nc_u32_e32 v32, 0x88b, v28
	v_add_co_ci_u32_e32 v21, vcc_lo, v31, v19, vcc_lo
	v_add_co_u32 v22, vcc_lo, v30, v4
	s_waitcnt lgkmcnt(0)
	global_store_dwordx4 v[16:17], v[8:11], off
	ds_read_b128 v[0:3], v26 offset:32400
	v_add_co_ci_u32_e32 v23, vcc_lo, v31, v5, vcc_lo
	ds_read_b128 v[4:7], v26 offset:33696
	ds_read_b128 v[8:11], v26 offset:34992
	;; [unrolled: 1-line block ×4, first 2 shown]
	v_lshlrev_b64 v[24:25], 4, v[32:33]
	v_add_nc_u32_e32 v32, 0x8dc, v28
	v_lshlrev_b64 v[26:27], 4, v[32:33]
	v_add_nc_u32_e32 v32, 0x92d, v28
	v_add_co_u32 v24, vcc_lo, v30, v24
	v_add_co_ci_u32_e32 v25, vcc_lo, v31, v25, vcc_lo
	v_lshlrev_b64 v[28:29], 4, v[32:33]
	v_add_co_u32 v26, vcc_lo, v30, v26
	v_add_co_ci_u32_e32 v27, vcc_lo, v31, v27, vcc_lo
	v_add_co_u32 v28, vcc_lo, v30, v28
	v_add_co_ci_u32_e32 v29, vcc_lo, v31, v29, vcc_lo
	s_waitcnt lgkmcnt(4)
	global_store_dwordx4 v[20:21], v[0:3], off
	s_waitcnt lgkmcnt(3)
	global_store_dwordx4 v[22:23], v[4:7], off
	;; [unrolled: 2-line block ×5, first 2 shown]
.LBB0_19:
	s_endpgm
	.section	.rodata,"a",@progbits
	.p2align	6, 0x0
	.amdhsa_kernel fft_rtc_back_len2430_factors_10_3_3_3_3_3_wgs_81_tpt_81_halfLds_dp_ip_CI_unitstride_sbrr_C2R_dirReg
		.amdhsa_group_segment_fixed_size 0
		.amdhsa_private_segment_fixed_size 68
		.amdhsa_kernarg_size 88
		.amdhsa_user_sgpr_count 6
		.amdhsa_user_sgpr_private_segment_buffer 1
		.amdhsa_user_sgpr_dispatch_ptr 0
		.amdhsa_user_sgpr_queue_ptr 0
		.amdhsa_user_sgpr_kernarg_segment_ptr 1
		.amdhsa_user_sgpr_dispatch_id 0
		.amdhsa_user_sgpr_flat_scratch_init 0
		.amdhsa_user_sgpr_private_segment_size 0
		.amdhsa_wavefront_size32 1
		.amdhsa_uses_dynamic_stack 0
		.amdhsa_system_sgpr_private_segment_wavefront_offset 1
		.amdhsa_system_sgpr_workgroup_id_x 1
		.amdhsa_system_sgpr_workgroup_id_y 0
		.amdhsa_system_sgpr_workgroup_id_z 0
		.amdhsa_system_sgpr_workgroup_info 0
		.amdhsa_system_vgpr_workitem_id 0
		.amdhsa_next_free_vgpr 256
		.amdhsa_next_free_sgpr 28
		.amdhsa_reserve_vcc 1
		.amdhsa_reserve_flat_scratch 0
		.amdhsa_float_round_mode_32 0
		.amdhsa_float_round_mode_16_64 0
		.amdhsa_float_denorm_mode_32 3
		.amdhsa_float_denorm_mode_16_64 3
		.amdhsa_dx10_clamp 1
		.amdhsa_ieee_mode 1
		.amdhsa_fp16_overflow 0
		.amdhsa_workgroup_processor_mode 1
		.amdhsa_memory_ordered 1
		.amdhsa_forward_progress 0
		.amdhsa_shared_vgpr_count 0
		.amdhsa_exception_fp_ieee_invalid_op 0
		.amdhsa_exception_fp_denorm_src 0
		.amdhsa_exception_fp_ieee_div_zero 0
		.amdhsa_exception_fp_ieee_overflow 0
		.amdhsa_exception_fp_ieee_underflow 0
		.amdhsa_exception_fp_ieee_inexact 0
		.amdhsa_exception_int_div_zero 0
	.end_amdhsa_kernel
	.text
.Lfunc_end0:
	.size	fft_rtc_back_len2430_factors_10_3_3_3_3_3_wgs_81_tpt_81_halfLds_dp_ip_CI_unitstride_sbrr_C2R_dirReg, .Lfunc_end0-fft_rtc_back_len2430_factors_10_3_3_3_3_3_wgs_81_tpt_81_halfLds_dp_ip_CI_unitstride_sbrr_C2R_dirReg
                                        ; -- End function
	.section	.AMDGPU.csdata,"",@progbits
; Kernel info:
; codeLenInByte = 27196
; NumSgprs: 30
; NumVgprs: 256
; ScratchSize: 68
; MemoryBound: 0
; FloatMode: 240
; IeeeMode: 1
; LDSByteSize: 0 bytes/workgroup (compile time only)
; SGPRBlocks: 3
; VGPRBlocks: 31
; NumSGPRsForWavesPerEU: 30
; NumVGPRsForWavesPerEU: 256
; Occupancy: 4
; WaveLimiterHint : 1
; COMPUTE_PGM_RSRC2:SCRATCH_EN: 1
; COMPUTE_PGM_RSRC2:USER_SGPR: 6
; COMPUTE_PGM_RSRC2:TRAP_HANDLER: 0
; COMPUTE_PGM_RSRC2:TGID_X_EN: 1
; COMPUTE_PGM_RSRC2:TGID_Y_EN: 0
; COMPUTE_PGM_RSRC2:TGID_Z_EN: 0
; COMPUTE_PGM_RSRC2:TIDIG_COMP_CNT: 0
	.text
	.p2alignl 6, 3214868480
	.fill 48, 4, 3214868480
	.type	__hip_cuid_99e76b8510a53aff,@object ; @__hip_cuid_99e76b8510a53aff
	.section	.bss,"aw",@nobits
	.globl	__hip_cuid_99e76b8510a53aff
__hip_cuid_99e76b8510a53aff:
	.byte	0                               ; 0x0
	.size	__hip_cuid_99e76b8510a53aff, 1

	.ident	"AMD clang version 19.0.0git (https://github.com/RadeonOpenCompute/llvm-project roc-6.4.0 25133 c7fe45cf4b819c5991fe208aaa96edf142730f1d)"
	.section	".note.GNU-stack","",@progbits
	.addrsig
	.addrsig_sym __hip_cuid_99e76b8510a53aff
	.amdgpu_metadata
---
amdhsa.kernels:
  - .args:
      - .actual_access:  read_only
        .address_space:  global
        .offset:         0
        .size:           8
        .value_kind:     global_buffer
      - .offset:         8
        .size:           8
        .value_kind:     by_value
      - .actual_access:  read_only
        .address_space:  global
        .offset:         16
        .size:           8
        .value_kind:     global_buffer
      - .actual_access:  read_only
        .address_space:  global
        .offset:         24
        .size:           8
        .value_kind:     global_buffer
      - .offset:         32
        .size:           8
        .value_kind:     by_value
      - .actual_access:  read_only
        .address_space:  global
        .offset:         40
        .size:           8
        .value_kind:     global_buffer
      - .actual_access:  read_only
        .address_space:  global
        .offset:         48
        .size:           8
        .value_kind:     global_buffer
      - .offset:         56
        .size:           4
        .value_kind:     by_value
      - .actual_access:  read_only
        .address_space:  global
        .offset:         64
        .size:           8
        .value_kind:     global_buffer
      - .actual_access:  read_only
        .address_space:  global
        .offset:         72
        .size:           8
        .value_kind:     global_buffer
      - .address_space:  global
        .offset:         80
        .size:           8
        .value_kind:     global_buffer
    .group_segment_fixed_size: 0
    .kernarg_segment_align: 8
    .kernarg_segment_size: 88
    .language:       OpenCL C
    .language_version:
      - 2
      - 0
    .max_flat_workgroup_size: 81
    .name:           fft_rtc_back_len2430_factors_10_3_3_3_3_3_wgs_81_tpt_81_halfLds_dp_ip_CI_unitstride_sbrr_C2R_dirReg
    .private_segment_fixed_size: 68
    .sgpr_count:     30
    .sgpr_spill_count: 0
    .symbol:         fft_rtc_back_len2430_factors_10_3_3_3_3_3_wgs_81_tpt_81_halfLds_dp_ip_CI_unitstride_sbrr_C2R_dirReg.kd
    .uniform_work_group_size: 1
    .uses_dynamic_stack: false
    .vgpr_count:     256
    .vgpr_spill_count: 25
    .wavefront_size: 32
    .workgroup_processor_mode: 1
amdhsa.target:   amdgcn-amd-amdhsa--gfx1030
amdhsa.version:
  - 1
  - 2
...

	.end_amdgpu_metadata
